;; amdgpu-corpus repo=ROCm/rocSPARSE kind=compiled arch=gfx906 opt=O3
	.amdgcn_target "amdgcn-amd-amdhsa--gfx906"
	.amdhsa_code_object_version 6
	.section	.text._ZN9rocsparseL19csr_max_nnz_per_rowILj256EiiEEvT1_PKT0_PS1_,"axG",@progbits,_ZN9rocsparseL19csr_max_nnz_per_rowILj256EiiEEvT1_PKT0_PS1_,comdat
	.globl	_ZN9rocsparseL19csr_max_nnz_per_rowILj256EiiEEvT1_PKT0_PS1_ ; -- Begin function _ZN9rocsparseL19csr_max_nnz_per_rowILj256EiiEEvT1_PKT0_PS1_
	.p2align	8
	.type	_ZN9rocsparseL19csr_max_nnz_per_rowILj256EiiEEvT1_PKT0_PS1_,@function
_ZN9rocsparseL19csr_max_nnz_per_rowILj256EiiEEvT1_PKT0_PS1_: ; @_ZN9rocsparseL19csr_max_nnz_per_rowILj256EiiEEvT1_PKT0_PS1_
; %bb.0:
	s_load_dword s0, s[4:5], 0x0
	v_lshl_or_b32 v1, s6, 8, v0
	v_mov_b32_e32 v2, 0
	s_waitcnt lgkmcnt(0)
	v_cmp_gt_i32_e32 vcc, s0, v1
	s_and_saveexec_b64 s[0:1], vcc
	s_cbranch_execz .LBB0_2
; %bb.1:
	s_load_dwordx2 s[2:3], s[4:5], 0x8
	v_ashrrev_i32_e32 v2, 31, v1
	v_lshlrev_b64 v[1:2], 2, v[1:2]
	s_waitcnt lgkmcnt(0)
	v_mov_b32_e32 v3, s3
	v_add_co_u32_e32 v1, vcc, s2, v1
	v_addc_co_u32_e32 v2, vcc, v3, v2, vcc
	global_load_dwordx2 v[1:2], v[1:2], off
	s_waitcnt vmcnt(0)
	v_sub_u32_e32 v2, v2, v1
.LBB0_2:
	s_or_b64 exec, exec, s[0:1]
	s_movk_i32 s0, 0x80
	v_lshlrev_b32_e32 v1, 2, v0
	v_cmp_gt_u32_e32 vcc, s0, v0
	ds_write_b32 v1, v2
	s_waitcnt lgkmcnt(0)
	s_barrier
	s_and_saveexec_b64 s[0:1], vcc
	s_cbranch_execz .LBB0_4
; %bb.3:
	ds_read2st64_b32 v[2:3], v1 offset1:2
	s_waitcnt lgkmcnt(0)
	v_max_i32_e32 v2, v2, v3
	ds_write_b32 v1, v2
.LBB0_4:
	s_or_b64 exec, exec, s[0:1]
	v_cmp_gt_u32_e32 vcc, 64, v0
	s_waitcnt lgkmcnt(0)
	s_barrier
	s_and_saveexec_b64 s[0:1], vcc
	s_cbranch_execz .LBB0_6
; %bb.5:
	ds_read2st64_b32 v[2:3], v1 offset1:1
	s_waitcnt lgkmcnt(0)
	v_max_i32_e32 v2, v2, v3
	ds_write_b32 v1, v2
.LBB0_6:
	s_or_b64 exec, exec, s[0:1]
	v_cmp_gt_u32_e32 vcc, 32, v0
	s_waitcnt lgkmcnt(0)
	s_barrier
	s_and_saveexec_b64 s[0:1], vcc
	s_cbranch_execz .LBB0_8
; %bb.7:
	ds_read2_b32 v[2:3], v1 offset1:32
	s_waitcnt lgkmcnt(0)
	v_max_i32_e32 v2, v2, v3
	ds_write_b32 v1, v2
.LBB0_8:
	s_or_b64 exec, exec, s[0:1]
	v_cmp_gt_u32_e32 vcc, 16, v0
	s_waitcnt lgkmcnt(0)
	s_barrier
	s_and_saveexec_b64 s[0:1], vcc
	s_cbranch_execz .LBB0_10
; %bb.9:
	ds_read2_b32 v[2:3], v1 offset1:16
	s_waitcnt lgkmcnt(0)
	v_max_i32_e32 v2, v2, v3
	ds_write_b32 v1, v2
.LBB0_10:
	;; [unrolled: 12-line block ×5, first 2 shown]
	s_or_b64 exec, exec, s[0:1]
	v_cmp_eq_u32_e32 vcc, 0, v0
	s_waitcnt lgkmcnt(0)
	s_barrier
	s_and_saveexec_b64 s[0:1], vcc
	s_cbranch_execz .LBB0_18
; %bb.17:
	v_mov_b32_e32 v2, 0
	ds_read_b64 v[0:1], v2
	s_waitcnt lgkmcnt(0)
	v_max_i32_e32 v0, v0, v1
	ds_write_b32 v2, v0
.LBB0_18:
	s_or_b64 exec, exec, s[0:1]
	s_waitcnt lgkmcnt(0)
	s_barrier
	s_and_saveexec_b64 s[0:1], vcc
	s_cbranch_execz .LBB0_21
; %bb.19:
	v_mbcnt_lo_u32_b32 v0, exec_lo, 0
	v_mbcnt_hi_u32_b32 v0, exec_hi, v0
	v_cmp_eq_u32_e32 vcc, 0, v0
	s_and_b64 exec, exec, vcc
	s_cbranch_execz .LBB0_21
; %bb.20:
	v_mov_b32_e32 v0, 0
	s_load_dwordx2 s[0:1], s[4:5], 0x10
	ds_read_b32 v1, v0
	s_waitcnt lgkmcnt(0)
	global_atomic_smax v0, v1, s[0:1]
.LBB0_21:
	s_endpgm
	.section	.rodata,"a",@progbits
	.p2align	6, 0x0
	.amdhsa_kernel _ZN9rocsparseL19csr_max_nnz_per_rowILj256EiiEEvT1_PKT0_PS1_
		.amdhsa_group_segment_fixed_size 1024
		.amdhsa_private_segment_fixed_size 0
		.amdhsa_kernarg_size 24
		.amdhsa_user_sgpr_count 6
		.amdhsa_user_sgpr_private_segment_buffer 1
		.amdhsa_user_sgpr_dispatch_ptr 0
		.amdhsa_user_sgpr_queue_ptr 0
		.amdhsa_user_sgpr_kernarg_segment_ptr 1
		.amdhsa_user_sgpr_dispatch_id 0
		.amdhsa_user_sgpr_flat_scratch_init 0
		.amdhsa_user_sgpr_private_segment_size 0
		.amdhsa_uses_dynamic_stack 0
		.amdhsa_system_sgpr_private_segment_wavefront_offset 0
		.amdhsa_system_sgpr_workgroup_id_x 1
		.amdhsa_system_sgpr_workgroup_id_y 0
		.amdhsa_system_sgpr_workgroup_id_z 0
		.amdhsa_system_sgpr_workgroup_info 0
		.amdhsa_system_vgpr_workitem_id 0
		.amdhsa_next_free_vgpr 4
		.amdhsa_next_free_sgpr 7
		.amdhsa_reserve_vcc 1
		.amdhsa_reserve_flat_scratch 0
		.amdhsa_float_round_mode_32 0
		.amdhsa_float_round_mode_16_64 0
		.amdhsa_float_denorm_mode_32 3
		.amdhsa_float_denorm_mode_16_64 3
		.amdhsa_dx10_clamp 1
		.amdhsa_ieee_mode 1
		.amdhsa_fp16_overflow 0
		.amdhsa_exception_fp_ieee_invalid_op 0
		.amdhsa_exception_fp_denorm_src 0
		.amdhsa_exception_fp_ieee_div_zero 0
		.amdhsa_exception_fp_ieee_overflow 0
		.amdhsa_exception_fp_ieee_underflow 0
		.amdhsa_exception_fp_ieee_inexact 0
		.amdhsa_exception_int_div_zero 0
	.end_amdhsa_kernel
	.section	.text._ZN9rocsparseL19csr_max_nnz_per_rowILj256EiiEEvT1_PKT0_PS1_,"axG",@progbits,_ZN9rocsparseL19csr_max_nnz_per_rowILj256EiiEEvT1_PKT0_PS1_,comdat
.Lfunc_end0:
	.size	_ZN9rocsparseL19csr_max_nnz_per_rowILj256EiiEEvT1_PKT0_PS1_, .Lfunc_end0-_ZN9rocsparseL19csr_max_nnz_per_rowILj256EiiEEvT1_PKT0_PS1_
                                        ; -- End function
	.set _ZN9rocsparseL19csr_max_nnz_per_rowILj256EiiEEvT1_PKT0_PS1_.num_vgpr, 4
	.set _ZN9rocsparseL19csr_max_nnz_per_rowILj256EiiEEvT1_PKT0_PS1_.num_agpr, 0
	.set _ZN9rocsparseL19csr_max_nnz_per_rowILj256EiiEEvT1_PKT0_PS1_.numbered_sgpr, 7
	.set _ZN9rocsparseL19csr_max_nnz_per_rowILj256EiiEEvT1_PKT0_PS1_.num_named_barrier, 0
	.set _ZN9rocsparseL19csr_max_nnz_per_rowILj256EiiEEvT1_PKT0_PS1_.private_seg_size, 0
	.set _ZN9rocsparseL19csr_max_nnz_per_rowILj256EiiEEvT1_PKT0_PS1_.uses_vcc, 1
	.set _ZN9rocsparseL19csr_max_nnz_per_rowILj256EiiEEvT1_PKT0_PS1_.uses_flat_scratch, 0
	.set _ZN9rocsparseL19csr_max_nnz_per_rowILj256EiiEEvT1_PKT0_PS1_.has_dyn_sized_stack, 0
	.set _ZN9rocsparseL19csr_max_nnz_per_rowILj256EiiEEvT1_PKT0_PS1_.has_recursion, 0
	.set _ZN9rocsparseL19csr_max_nnz_per_rowILj256EiiEEvT1_PKT0_PS1_.has_indirect_call, 0
	.section	.AMDGPU.csdata,"",@progbits
; Kernel info:
; codeLenInByte = 576
; TotalNumSgprs: 11
; NumVgprs: 4
; ScratchSize: 0
; MemoryBound: 0
; FloatMode: 240
; IeeeMode: 1
; LDSByteSize: 1024 bytes/workgroup (compile time only)
; SGPRBlocks: 1
; VGPRBlocks: 0
; NumSGPRsForWavesPerEU: 11
; NumVGPRsForWavesPerEU: 4
; Occupancy: 10
; WaveLimiterHint : 0
; COMPUTE_PGM_RSRC2:SCRATCH_EN: 0
; COMPUTE_PGM_RSRC2:USER_SGPR: 6
; COMPUTE_PGM_RSRC2:TRAP_HANDLER: 0
; COMPUTE_PGM_RSRC2:TGID_X_EN: 1
; COMPUTE_PGM_RSRC2:TGID_Y_EN: 0
; COMPUTE_PGM_RSRC2:TGID_Z_EN: 0
; COMPUTE_PGM_RSRC2:TIDIG_COMP_CNT: 0
	.section	.text._ZN9rocsparseL19csr_max_nnz_per_rowILj256EllEEvT1_PKT0_PS1_,"axG",@progbits,_ZN9rocsparseL19csr_max_nnz_per_rowILj256EllEEvT1_PKT0_PS1_,comdat
	.globl	_ZN9rocsparseL19csr_max_nnz_per_rowILj256EllEEvT1_PKT0_PS1_ ; -- Begin function _ZN9rocsparseL19csr_max_nnz_per_rowILj256EllEEvT1_PKT0_PS1_
	.p2align	8
	.type	_ZN9rocsparseL19csr_max_nnz_per_rowILj256EllEEvT1_PKT0_PS1_,@function
_ZN9rocsparseL19csr_max_nnz_per_rowILj256EllEEvT1_PKT0_PS1_: ; @_ZN9rocsparseL19csr_max_nnz_per_rowILj256EllEEvT1_PKT0_PS1_
; %bb.0:
	s_load_dwordx2 s[0:1], s[4:5], 0x0
	v_mov_b32_e32 v4, 0
	v_lshl_or_b32 v3, s6, 8, v0
	v_mov_b32_e32 v1, 0
	v_mov_b32_e32 v2, 0
	s_waitcnt lgkmcnt(0)
	v_cmp_gt_i64_e32 vcc, s[0:1], v[3:4]
	s_and_saveexec_b64 s[0:1], vcc
	s_cbranch_execz .LBB1_2
; %bb.1:
	s_load_dwordx2 s[2:3], s[4:5], 0x8
	v_lshlrev_b64 v[1:2], 3, v[3:4]
	s_waitcnt lgkmcnt(0)
	v_mov_b32_e32 v3, s3
	v_add_co_u32_e32 v1, vcc, s2, v1
	v_addc_co_u32_e32 v2, vcc, v3, v2, vcc
	global_load_dwordx4 v[1:4], v[1:2], off
	s_waitcnt vmcnt(0)
	v_sub_co_u32_e32 v1, vcc, v3, v1
	v_subb_co_u32_e32 v2, vcc, v4, v2, vcc
.LBB1_2:
	s_or_b64 exec, exec, s[0:1]
	s_movk_i32 s0, 0x80
	v_lshlrev_b32_e32 v3, 3, v0
	v_cmp_gt_u32_e32 vcc, s0, v0
	ds_write_b64 v3, v[1:2]
	s_waitcnt lgkmcnt(0)
	s_barrier
	s_and_saveexec_b64 s[0:1], vcc
	s_cbranch_execz .LBB1_4
; %bb.3:
	ds_read2st64_b64 v[4:7], v3 offset1:2
	s_waitcnt lgkmcnt(0)
	v_cmp_gt_i64_e32 vcc, v[4:5], v[6:7]
	v_cndmask_b32_e32 v2, v7, v5, vcc
	v_cndmask_b32_e32 v1, v6, v4, vcc
	ds_write_b64 v3, v[1:2]
.LBB1_4:
	s_or_b64 exec, exec, s[0:1]
	v_cmp_gt_u32_e32 vcc, 64, v0
	s_waitcnt lgkmcnt(0)
	s_barrier
	s_and_saveexec_b64 s[0:1], vcc
	s_cbranch_execz .LBB1_6
; %bb.5:
	ds_read2st64_b64 v[4:7], v3 offset1:1
	s_waitcnt lgkmcnt(0)
	v_cmp_gt_i64_e32 vcc, v[4:5], v[6:7]
	v_cndmask_b32_e32 v2, v7, v5, vcc
	v_cndmask_b32_e32 v1, v6, v4, vcc
	ds_write_b64 v3, v[1:2]
.LBB1_6:
	s_or_b64 exec, exec, s[0:1]
	v_cmp_gt_u32_e32 vcc, 32, v0
	s_waitcnt lgkmcnt(0)
	s_barrier
	s_and_saveexec_b64 s[0:1], vcc
	s_cbranch_execz .LBB1_8
; %bb.7:
	ds_read2_b64 v[4:7], v3 offset1:32
	s_waitcnt lgkmcnt(0)
	v_cmp_gt_i64_e32 vcc, v[4:5], v[6:7]
	v_cndmask_b32_e32 v2, v7, v5, vcc
	v_cndmask_b32_e32 v1, v6, v4, vcc
	ds_write_b64 v3, v[1:2]
.LBB1_8:
	s_or_b64 exec, exec, s[0:1]
	v_cmp_gt_u32_e32 vcc, 16, v0
	s_waitcnt lgkmcnt(0)
	s_barrier
	s_and_saveexec_b64 s[0:1], vcc
	s_cbranch_execz .LBB1_10
; %bb.9:
	ds_read2_b64 v[4:7], v3 offset1:16
	s_waitcnt lgkmcnt(0)
	v_cmp_gt_i64_e32 vcc, v[4:5], v[6:7]
	v_cndmask_b32_e32 v2, v7, v5, vcc
	v_cndmask_b32_e32 v1, v6, v4, vcc
	ds_write_b64 v3, v[1:2]
.LBB1_10:
	s_or_b64 exec, exec, s[0:1]
	v_cmp_gt_u32_e32 vcc, 8, v0
	s_waitcnt lgkmcnt(0)
	s_barrier
	s_and_saveexec_b64 s[0:1], vcc
	s_cbranch_execz .LBB1_12
; %bb.11:
	ds_read2_b64 v[4:7], v3 offset1:8
	s_waitcnt lgkmcnt(0)
	v_cmp_gt_i64_e32 vcc, v[4:5], v[6:7]
	v_cndmask_b32_e32 v2, v7, v5, vcc
	v_cndmask_b32_e32 v1, v6, v4, vcc
	ds_write_b64 v3, v[1:2]
.LBB1_12:
	s_or_b64 exec, exec, s[0:1]
	v_cmp_gt_u32_e32 vcc, 4, v0
	s_waitcnt lgkmcnt(0)
	s_barrier
	s_and_saveexec_b64 s[0:1], vcc
	s_cbranch_execz .LBB1_14
; %bb.13:
	ds_read2_b64 v[4:7], v3 offset1:4
	s_waitcnt lgkmcnt(0)
	v_cmp_gt_i64_e32 vcc, v[4:5], v[6:7]
	v_cndmask_b32_e32 v2, v7, v5, vcc
	v_cndmask_b32_e32 v1, v6, v4, vcc
	ds_write_b64 v3, v[1:2]
.LBB1_14:
	s_or_b64 exec, exec, s[0:1]
	v_cmp_gt_u32_e32 vcc, 2, v0
	s_waitcnt lgkmcnt(0)
	s_barrier
	s_and_saveexec_b64 s[0:1], vcc
	s_cbranch_execz .LBB1_16
; %bb.15:
	ds_read2_b64 v[4:7], v3 offset1:2
	s_waitcnt lgkmcnt(0)
	v_cmp_gt_i64_e32 vcc, v[4:5], v[6:7]
	v_cndmask_b32_e32 v2, v7, v5, vcc
	v_cndmask_b32_e32 v1, v6, v4, vcc
	ds_write_b64 v3, v[1:2]
.LBB1_16:
	s_or_b64 exec, exec, s[0:1]
	v_cmp_eq_u32_e32 vcc, 0, v0
	s_waitcnt lgkmcnt(0)
	s_barrier
	s_and_saveexec_b64 s[2:3], vcc
	s_cbranch_execz .LBB1_18
; %bb.17:
	v_mov_b32_e32 v4, 0
	ds_read_b128 v[0:3], v4
	s_waitcnt lgkmcnt(0)
	v_cmp_gt_i64_e64 s[0:1], v[0:1], v[2:3]
	v_cndmask_b32_e64 v1, v3, v1, s[0:1]
	v_cndmask_b32_e64 v0, v2, v0, s[0:1]
	ds_write_b64 v4, v[0:1]
.LBB1_18:
	s_or_b64 exec, exec, s[2:3]
	s_waitcnt lgkmcnt(0)
	s_barrier
	s_and_saveexec_b64 s[0:1], vcc
	s_cbranch_execz .LBB1_21
; %bb.19:
	v_mbcnt_lo_u32_b32 v0, exec_lo, 0
	v_mbcnt_hi_u32_b32 v0, exec_hi, v0
	v_cmp_eq_u32_e32 vcc, 0, v0
	s_and_b64 exec, exec, vcc
	s_cbranch_execz .LBB1_21
; %bb.20:
	v_mov_b32_e32 v2, 0
	s_load_dwordx2 s[0:1], s[4:5], 0x10
	ds_read_b64 v[0:1], v2
	s_waitcnt lgkmcnt(0)
	global_atomic_umax_x2 v2, v[0:1], s[0:1]
.LBB1_21:
	s_endpgm
	.section	.rodata,"a",@progbits
	.p2align	6, 0x0
	.amdhsa_kernel _ZN9rocsparseL19csr_max_nnz_per_rowILj256EllEEvT1_PKT0_PS1_
		.amdhsa_group_segment_fixed_size 2048
		.amdhsa_private_segment_fixed_size 0
		.amdhsa_kernarg_size 24
		.amdhsa_user_sgpr_count 6
		.amdhsa_user_sgpr_private_segment_buffer 1
		.amdhsa_user_sgpr_dispatch_ptr 0
		.amdhsa_user_sgpr_queue_ptr 0
		.amdhsa_user_sgpr_kernarg_segment_ptr 1
		.amdhsa_user_sgpr_dispatch_id 0
		.amdhsa_user_sgpr_flat_scratch_init 0
		.amdhsa_user_sgpr_private_segment_size 0
		.amdhsa_uses_dynamic_stack 0
		.amdhsa_system_sgpr_private_segment_wavefront_offset 0
		.amdhsa_system_sgpr_workgroup_id_x 1
		.amdhsa_system_sgpr_workgroup_id_y 0
		.amdhsa_system_sgpr_workgroup_id_z 0
		.amdhsa_system_sgpr_workgroup_info 0
		.amdhsa_system_vgpr_workitem_id 0
		.amdhsa_next_free_vgpr 8
		.amdhsa_next_free_sgpr 7
		.amdhsa_reserve_vcc 1
		.amdhsa_reserve_flat_scratch 0
		.amdhsa_float_round_mode_32 0
		.amdhsa_float_round_mode_16_64 0
		.amdhsa_float_denorm_mode_32 3
		.amdhsa_float_denorm_mode_16_64 3
		.amdhsa_dx10_clamp 1
		.amdhsa_ieee_mode 1
		.amdhsa_fp16_overflow 0
		.amdhsa_exception_fp_ieee_invalid_op 0
		.amdhsa_exception_fp_denorm_src 0
		.amdhsa_exception_fp_ieee_div_zero 0
		.amdhsa_exception_fp_ieee_overflow 0
		.amdhsa_exception_fp_ieee_underflow 0
		.amdhsa_exception_fp_ieee_inexact 0
		.amdhsa_exception_int_div_zero 0
	.end_amdhsa_kernel
	.section	.text._ZN9rocsparseL19csr_max_nnz_per_rowILj256EllEEvT1_PKT0_PS1_,"axG",@progbits,_ZN9rocsparseL19csr_max_nnz_per_rowILj256EllEEvT1_PKT0_PS1_,comdat
.Lfunc_end1:
	.size	_ZN9rocsparseL19csr_max_nnz_per_rowILj256EllEEvT1_PKT0_PS1_, .Lfunc_end1-_ZN9rocsparseL19csr_max_nnz_per_rowILj256EllEEvT1_PKT0_PS1_
                                        ; -- End function
	.set _ZN9rocsparseL19csr_max_nnz_per_rowILj256EllEEvT1_PKT0_PS1_.num_vgpr, 8
	.set _ZN9rocsparseL19csr_max_nnz_per_rowILj256EllEEvT1_PKT0_PS1_.num_agpr, 0
	.set _ZN9rocsparseL19csr_max_nnz_per_rowILj256EllEEvT1_PKT0_PS1_.numbered_sgpr, 7
	.set _ZN9rocsparseL19csr_max_nnz_per_rowILj256EllEEvT1_PKT0_PS1_.num_named_barrier, 0
	.set _ZN9rocsparseL19csr_max_nnz_per_rowILj256EllEEvT1_PKT0_PS1_.private_seg_size, 0
	.set _ZN9rocsparseL19csr_max_nnz_per_rowILj256EllEEvT1_PKT0_PS1_.uses_vcc, 1
	.set _ZN9rocsparseL19csr_max_nnz_per_rowILj256EllEEvT1_PKT0_PS1_.uses_flat_scratch, 0
	.set _ZN9rocsparseL19csr_max_nnz_per_rowILj256EllEEvT1_PKT0_PS1_.has_dyn_sized_stack, 0
	.set _ZN9rocsparseL19csr_max_nnz_per_rowILj256EllEEvT1_PKT0_PS1_.has_recursion, 0
	.set _ZN9rocsparseL19csr_max_nnz_per_rowILj256EllEEvT1_PKT0_PS1_.has_indirect_call, 0
	.section	.AMDGPU.csdata,"",@progbits
; Kernel info:
; codeLenInByte = 660
; TotalNumSgprs: 11
; NumVgprs: 8
; ScratchSize: 0
; MemoryBound: 1
; FloatMode: 240
; IeeeMode: 1
; LDSByteSize: 2048 bytes/workgroup (compile time only)
; SGPRBlocks: 1
; VGPRBlocks: 1
; NumSGPRsForWavesPerEU: 11
; NumVGPRsForWavesPerEU: 8
; Occupancy: 10
; WaveLimiterHint : 0
; COMPUTE_PGM_RSRC2:SCRATCH_EN: 0
; COMPUTE_PGM_RSRC2:USER_SGPR: 6
; COMPUTE_PGM_RSRC2:TRAP_HANDLER: 0
; COMPUTE_PGM_RSRC2:TGID_X_EN: 1
; COMPUTE_PGM_RSRC2:TGID_Y_EN: 0
; COMPUTE_PGM_RSRC2:TGID_Z_EN: 0
; COMPUTE_PGM_RSRC2:TIDIG_COMP_CNT: 0
	.section	.text._ZN9rocsparseL22coomvn_segmented_loopsILj256EiffffEEvlT0_NS_24const_host_device_scalarIT4_EEPKS1_S6_PKT1_PKT2_PT3_PS1_PS3_21rocsparse_index_base_b,"axG",@progbits,_ZN9rocsparseL22coomvn_segmented_loopsILj256EiffffEEvlT0_NS_24const_host_device_scalarIT4_EEPKS1_S6_PKT1_PKT2_PT3_PS1_PS3_21rocsparse_index_base_b,comdat
	.globl	_ZN9rocsparseL22coomvn_segmented_loopsILj256EiffffEEvlT0_NS_24const_host_device_scalarIT4_EEPKS1_S6_PKT1_PKT2_PT3_PS1_PS3_21rocsparse_index_base_b ; -- Begin function _ZN9rocsparseL22coomvn_segmented_loopsILj256EiffffEEvlT0_NS_24const_host_device_scalarIT4_EEPKS1_S6_PKT1_PKT2_PT3_PS1_PS3_21rocsparse_index_base_b
	.p2align	8
	.type	_ZN9rocsparseL22coomvn_segmented_loopsILj256EiffffEEvlT0_NS_24const_host_device_scalarIT4_EEPKS1_S6_PKT1_PKT2_PT3_PS1_PS3_21rocsparse_index_base_b,@function
_ZN9rocsparseL22coomvn_segmented_loopsILj256EiffffEEvlT0_NS_24const_host_device_scalarIT4_EEPKS1_S6_PKT1_PKT2_PT3_PS1_PS3_21rocsparse_index_base_b: ; @_ZN9rocsparseL22coomvn_segmented_loopsILj256EiffffEEvlT0_NS_24const_host_device_scalarIT4_EEPKS1_S6_PKT1_PKT2_PT3_PS1_PS3_21rocsparse_index_base_b
; %bb.0:
	s_load_dwordx2 s[30:31], s[4:5], 0x50
	s_load_dwordx2 s[28:29], s[4:5], 0x10
	s_waitcnt lgkmcnt(0)
	s_bitcmp1_b32 s31, 0
	s_cselect_b64 s[0:1], -1, 0
	s_and_b64 vcc, exec, s[0:1]
	s_cbranch_vccnz .LBB2_2
; %bb.1:
	s_load_dword s28, s[28:29], 0x0
.LBB2_2:
	s_waitcnt lgkmcnt(0)
	v_cmp_eq_f32_e64 s[0:1], s28, 0
	s_and_b64 vcc, exec, s[0:1]
	s_cbranch_vccnz .LBB2_89
; %bb.3:
	s_load_dword s33, s[4:5], 0x8
	s_load_dwordx2 s[34:35], s[4:5], 0x0
	s_load_dwordx8 s[36:43], s[4:5], 0x18
	v_mov_b32_e32 v2, 0
	v_mov_b32_e32 v3, -1
	s_waitcnt lgkmcnt(0)
	s_mul_i32 s0, s6, s33
	v_lshl_or_b32 v1, s0, 8, v0
	v_cmp_gt_i64_e32 vcc, s[34:35], v[1:2]
	v_lshlrev_b64 v[5:6], 2, v[1:2]
	s_and_saveexec_b64 s[0:1], vcc
	s_cbranch_execz .LBB2_5
; %bb.4:
	v_mov_b32_e32 v3, s39
	v_add_co_u32_e32 v2, vcc, s38, v5
	v_addc_co_u32_e32 v3, vcc, v3, v6, vcc
	global_load_dword v2, v[2:3], off glc slc
	v_mov_b32_e32 v4, s37
	v_add_co_u32_e32 v3, vcc, s36, v5
	v_addc_co_u32_e32 v4, vcc, v4, v6, vcc
	v_mov_b32_e32 v8, s41
	v_add_co_u32_e32 v7, vcc, s40, v5
	v_addc_co_u32_e32 v8, vcc, v8, v6, vcc
	global_load_dword v10, v[3:4], off glc slc
	global_load_dword v11, v[7:8], off glc slc
	v_mov_b32_e32 v9, s43
	s_ashr_i32 s31, s30, 31
	s_lshl_b64 s[2:3], s[30:31], 2
	v_mov_b32_e32 v4, s3
	s_waitcnt vmcnt(2)
	v_ashrrev_i32_e32 v3, 31, v2
	v_lshlrev_b64 v[2:3], 2, v[2:3]
	v_add_co_u32_e32 v2, vcc, s42, v2
	v_addc_co_u32_e32 v3, vcc, v9, v3, vcc
	v_subrev_co_u32_e32 v2, vcc, s2, v2
	v_subb_co_u32_e32 v3, vcc, v3, v4, vcc
	global_load_dword v2, v[2:3], off
	s_waitcnt vmcnt(2)
	v_subrev_u32_e32 v3, s30, v10
	s_waitcnt vmcnt(0)
	v_mul_f32_e32 v2, v11, v2
.LBB2_5:
	s_or_b64 exec, exec, s[0:1]
	v_lshlrev_b32_e32 v13, 2, v0
	v_or_b32_e32 v14, 0x400, v13
	v_cmp_eq_u32_e64 s[0:1], 0, v0
	v_cmp_ne_u32_e64 s[2:3], 0, v0
	v_add_u32_e32 v15, -4, v13
	ds_write2st64_b32 v13, v3, v2 offset1:4
	s_waitcnt lgkmcnt(0)
	s_barrier
	s_and_saveexec_b64 s[8:9], s[2:3]
	s_cbranch_execz .LBB2_9
; %bb.6:
	ds_read_b32 v4, v15
	s_waitcnt lgkmcnt(0)
	v_cmp_eq_u32_e32 vcc, v3, v4
	s_and_saveexec_b64 s[10:11], vcc
	s_cbranch_execz .LBB2_8
; %bb.7:
	v_add_u32_e32 v4, -4, v14
	ds_read_b32 v4, v4
	s_waitcnt lgkmcnt(0)
	v_add_f32_e32 v2, v2, v4
.LBB2_8:
	s_or_b64 exec, exec, s[10:11]
.LBB2_9:
	s_or_b64 exec, exec, s[8:9]
	v_cmp_lt_u32_e64 s[22:23], 1, v0
	v_add_u32_e32 v16, -8, v13
	s_barrier
	ds_write_b32 v14, v2
	s_waitcnt lgkmcnt(0)
	s_barrier
	s_and_saveexec_b64 s[8:9], s[22:23]
	s_cbranch_execz .LBB2_13
; %bb.10:
	ds_read_b32 v4, v16
	s_waitcnt lgkmcnt(0)
	v_cmp_eq_u32_e32 vcc, v3, v4
	s_and_saveexec_b64 s[10:11], vcc
	s_cbranch_execz .LBB2_12
; %bb.11:
	v_add_u32_e32 v4, -8, v14
	ds_read_b32 v4, v4
	s_waitcnt lgkmcnt(0)
	v_add_f32_e32 v2, v2, v4
.LBB2_12:
	s_or_b64 exec, exec, s[10:11]
.LBB2_13:
	s_or_b64 exec, exec, s[8:9]
	v_cmp_lt_u32_e64 s[8:9], 3, v0
	v_add_u32_e32 v17, -16, v13
	s_barrier
	ds_write_b32 v14, v2
	s_waitcnt lgkmcnt(0)
	s_barrier
	s_and_saveexec_b64 s[10:11], s[8:9]
	s_cbranch_execz .LBB2_17
; %bb.14:
	ds_read_b32 v4, v17
	s_waitcnt lgkmcnt(0)
	v_cmp_eq_u32_e32 vcc, v3, v4
	s_and_saveexec_b64 s[12:13], vcc
	s_cbranch_execz .LBB2_16
; %bb.15:
	v_add_u32_e32 v4, -16, v14
	ds_read_b32 v4, v4
	s_waitcnt lgkmcnt(0)
	v_add_f32_e32 v2, v2, v4
.LBB2_16:
	s_or_b64 exec, exec, s[12:13]
.LBB2_17:
	s_or_b64 exec, exec, s[10:11]
	v_cmp_lt_u32_e64 s[10:11], 7, v0
	v_subrev_u32_e32 v18, 32, v13
	s_barrier
	ds_write_b32 v14, v2
	s_waitcnt lgkmcnt(0)
	s_barrier
	s_and_saveexec_b64 s[12:13], s[10:11]
	s_cbranch_execz .LBB2_21
; %bb.18:
	ds_read_b32 v4, v18
	s_waitcnt lgkmcnt(0)
	v_cmp_eq_u32_e32 vcc, v3, v4
	s_and_saveexec_b64 s[14:15], vcc
	s_cbranch_execz .LBB2_20
; %bb.19:
	v_subrev_u32_e32 v4, 32, v14
	ds_read_b32 v4, v4
	s_waitcnt lgkmcnt(0)
	v_add_f32_e32 v2, v2, v4
.LBB2_20:
	s_or_b64 exec, exec, s[14:15]
.LBB2_21:
	s_or_b64 exec, exec, s[12:13]
	v_cmp_lt_u32_e64 s[12:13], 15, v0
	v_subrev_u32_e32 v19, 64, v13
	s_barrier
	ds_write_b32 v14, v2
	s_waitcnt lgkmcnt(0)
	s_barrier
	s_and_saveexec_b64 s[14:15], s[12:13]
	s_cbranch_execz .LBB2_25
; %bb.22:
	ds_read_b32 v4, v19
	s_waitcnt lgkmcnt(0)
	v_cmp_eq_u32_e32 vcc, v3, v4
	s_and_saveexec_b64 s[16:17], vcc
	s_cbranch_execz .LBB2_24
; %bb.23:
	v_subrev_u32_e32 v4, 64, v14
	ds_read_b32 v4, v4
	s_waitcnt lgkmcnt(0)
	v_add_f32_e32 v2, v2, v4
.LBB2_24:
	s_or_b64 exec, exec, s[16:17]
.LBB2_25:
	s_or_b64 exec, exec, s[14:15]
	v_cmp_lt_u32_e64 s[14:15], 31, v0
	s_barrier
	ds_write_b32 v14, v2
	s_waitcnt lgkmcnt(0)
	s_barrier
	s_and_saveexec_b64 s[16:17], s[14:15]
	s_cbranch_execz .LBB2_29
; %bb.26:
	v_add_u32_e32 v4, 0xffffff80, v13
	ds_read_b32 v4, v4
	s_waitcnt lgkmcnt(0)
	v_cmp_eq_u32_e32 vcc, v3, v4
	s_and_saveexec_b64 s[18:19], vcc
	s_cbranch_execz .LBB2_28
; %bb.27:
	v_add_u32_e32 v4, 0xffffff80, v14
	ds_read_b32 v4, v4
	s_waitcnt lgkmcnt(0)
	v_add_f32_e32 v2, v2, v4
.LBB2_28:
	s_or_b64 exec, exec, s[18:19]
.LBB2_29:
	s_or_b64 exec, exec, s[16:17]
	v_cmp_lt_u32_e64 s[16:17], 63, v0
	s_barrier
	ds_write_b32 v14, v2
	s_waitcnt lgkmcnt(0)
	s_barrier
	s_and_saveexec_b64 s[18:19], s[16:17]
	s_cbranch_execz .LBB2_33
; %bb.30:
	v_add_u32_e32 v4, 0xffffff00, v13
	ds_read_b32 v4, v4
	s_waitcnt lgkmcnt(0)
	v_cmp_eq_u32_e32 vcc, v3, v4
	s_and_saveexec_b64 s[20:21], vcc
	s_cbranch_execz .LBB2_32
; %bb.31:
	v_add_u32_e32 v4, 0xffffff00, v14
	ds_read_b32 v4, v4
	s_waitcnt lgkmcnt(0)
	v_add_f32_e32 v2, v2, v4
.LBB2_32:
	s_or_b64 exec, exec, s[20:21]
.LBB2_33:
	s_or_b64 exec, exec, s[18:19]
	s_load_dwordx2 s[44:45], s[4:5], 0x38
	s_movk_i32 s7, 0x7f
	v_cmp_lt_u32_e64 s[18:19], s7, v0
	s_waitcnt lgkmcnt(0)
	s_barrier
	ds_write_b32 v14, v2
	s_waitcnt lgkmcnt(0)
	s_barrier
	s_and_saveexec_b64 s[20:21], s[18:19]
	s_cbranch_execz .LBB2_37
; %bb.34:
	v_add_u32_e32 v4, 0xfffffe00, v13
	ds_read_b32 v4, v4
	s_waitcnt lgkmcnt(0)
	v_cmp_eq_u32_e32 vcc, v3, v4
	s_and_saveexec_b64 s[24:25], vcc
	s_cbranch_execz .LBB2_36
; %bb.35:
	v_add_u32_e32 v4, 0xfffffe00, v14
	ds_read_b32 v4, v4
	s_waitcnt lgkmcnt(0)
	v_add_f32_e32 v2, v2, v4
.LBB2_36:
	s_or_b64 exec, exec, s[24:25]
.LBB2_37:
	s_or_b64 exec, exec, s[20:21]
	s_movk_i32 s7, 0xff
	v_cmp_gt_u32_e64 s[20:21], s7, v0
	s_barrier
	ds_write_b32 v14, v2
	s_waitcnt lgkmcnt(0)
	s_barrier
	s_and_saveexec_b64 s[26:27], s[20:21]
	s_cbranch_execz .LBB2_40
; %bb.38:
	ds_read_b32 v4, v13 offset:4
	v_cmp_lt_i32_e64 s[24:25], -1, v3
	s_waitcnt lgkmcnt(0)
	v_cmp_ne_u32_e32 vcc, v3, v4
	s_and_b64 s[24:25], s[24:25], vcc
	s_and_b64 exec, exec, s[24:25]
	s_cbranch_execz .LBB2_40
; %bb.39:
	v_mov_b32_e32 v4, 0
	v_lshlrev_b64 v[7:8], 2, v[3:4]
	v_mov_b32_e32 v4, s45
	v_add_co_u32_e32 v7, vcc, s44, v7
	v_addc_co_u32_e32 v8, vcc, v4, v8, vcc
	global_load_dword v4, v[7:8], off
	s_waitcnt vmcnt(0)
	v_fmac_f32_e32 v4, s28, v2
	global_store_dword v[7:8], v4, off
.LBB2_40:
	s_or_b64 exec, exec, s[26:27]
	s_load_dwordx4 s[24:27], s[4:5], 0x40
	s_cmp_lt_i32 s33, 2
	s_cbranch_scc1 .LBB2_87
; %bb.41:
	s_ashr_i32 s31, s30, 31
	s_lshl_b64 s[4:5], s[30:31], 2
	s_sub_u32 s7, s42, s4
	s_movk_i32 s4, 0x400
	v_add_co_u32_e32 v2, vcc, s4, v5
	v_addc_co_u32_e32 v3, vcc, 0, v6, vcc
	v_mov_b32_e32 v4, s39
	v_add_co_u32_e32 v5, vcc, s38, v2
	v_addc_co_u32_e32 v6, vcc, v4, v3, vcc
	v_mov_b32_e32 v4, s41
	;; [unrolled: 3-line block ×3, first 2 shown]
	v_add_co_u32_e32 v9, vcc, s36, v2
	v_addc_co_u32_e32 v10, vcc, v4, v3, vcc
	s_movk_i32 s4, 0x100
	v_add_co_u32_e32 v11, vcc, s4, v1
	s_subb_u32 s29, s43, s5
	v_subrev_u32_e32 v20, 32, v14
	v_subrev_u32_e32 v21, 64, v14
	v_add_u32_e32 v22, 0xffffff80, v13
	v_add_u32_e32 v23, 0xffffff80, v14
	;; [unrolled: 1-line block ×5, first 2 shown]
	v_addc_co_u32_e64 v12, s[4:5], 0, 0, vcc
	s_add_i32 s31, s33, -1
	s_mov_b32 s37, 0
	v_add_u32_e32 v1, 0xfffffe00, v14
	v_mov_b32_e32 v4, 0
	s_branch .LBB2_43
.LBB2_42:                               ;   in Loop: Header=BB2_43 Depth=1
	s_or_b64 exec, exec, s[38:39]
	v_add_co_u32_e32 v5, vcc, 0x400, v5
	v_addc_co_u32_e32 v6, vcc, 0, v6, vcc
	v_add_co_u32_e32 v7, vcc, 0x400, v7
	v_addc_co_u32_e32 v8, vcc, 0, v8, vcc
	;; [unrolled: 2-line block ×3, first 2 shown]
	v_add_co_u32_e32 v11, vcc, 0x100, v11
	s_add_i32 s31, s31, -1
	s_cmp_eq_u32 s31, 0
	v_addc_co_u32_e32 v12, vcc, 0, v12, vcc
	s_cbranch_scc1 .LBB2_87
.LBB2_43:                               ; =>This Inner Loop Header: Depth=1
	v_cmp_gt_i64_e32 vcc, s[34:35], v[11:12]
	v_mov_b32_e32 v3, -1
	v_mov_b32_e32 v2, 0
	s_and_saveexec_b64 s[4:5], vcc
	s_cbranch_execz .LBB2_45
; %bb.44:                               ;   in Loop: Header=BB2_43 Depth=1
	global_load_dword v2, v[5:6], off glc slc
	global_load_dword v27, v[9:10], off glc slc
	;; [unrolled: 1-line block ×3, first 2 shown]
	v_mov_b32_e32 v29, s29
	s_waitcnt vmcnt(2)
	v_ashrrev_i32_e32 v3, 31, v2
	v_lshlrev_b64 v[2:3], 2, v[2:3]
	v_add_co_u32_e32 v2, vcc, s7, v2
	v_addc_co_u32_e32 v3, vcc, v29, v3, vcc
	global_load_dword v2, v[2:3], off
	s_waitcnt vmcnt(2)
	v_subrev_u32_e32 v3, s30, v27
	s_waitcnt vmcnt(0)
	v_mul_f32_e32 v2, v28, v2
.LBB2_45:                               ;   in Loop: Header=BB2_43 Depth=1
	s_or_b64 exec, exec, s[4:5]
	s_and_saveexec_b64 s[4:5], s[0:1]
	s_cbranch_execz .LBB2_52
; %bb.46:                               ;   in Loop: Header=BB2_43 Depth=1
	ds_read_b32 v27, v4 offset:1020
	s_waitcnt lgkmcnt(0)
	v_readfirstlane_b32 s36, v27
	v_cmp_ne_u32_e32 vcc, v3, v27
	s_and_saveexec_b64 s[38:39], vcc
	s_xor_b64 s[38:39], exec, s[38:39]
	s_cbranch_execz .LBB2_49
; %bb.47:                               ;   in Loop: Header=BB2_43 Depth=1
	s_cmp_lt_i32 s36, 0
	s_cbranch_scc1 .LBB2_49
; %bb.48:                               ;   in Loop: Header=BB2_43 Depth=1
	s_lshl_b64 s[40:41], s[36:37], 2
	s_add_u32 s40, s44, s40
	s_addc_u32 s41, s45, s41
	global_load_dword v27, v4, s[40:41]
	ds_read_b32 v28, v4 offset:2044
	s_waitcnt vmcnt(0) lgkmcnt(0)
	v_fmac_f32_e32 v27, s28, v28
	global_store_dword v4, v27, s[40:41]
.LBB2_49:                               ;   in Loop: Header=BB2_43 Depth=1
	s_andn2_saveexec_b64 s[38:39], s[38:39]
	s_cbranch_execz .LBB2_51
; %bb.50:                               ;   in Loop: Header=BB2_43 Depth=1
	ds_read_b32 v27, v4 offset:2044
	s_waitcnt lgkmcnt(0)
	v_add_f32_e32 v2, v2, v27
.LBB2_51:                               ;   in Loop: Header=BB2_43 Depth=1
	s_or_b64 exec, exec, s[38:39]
.LBB2_52:                               ;   in Loop: Header=BB2_43 Depth=1
	s_or_b64 exec, exec, s[4:5]
	s_waitcnt vmcnt(0) lgkmcnt(0)
	s_barrier
	ds_write_b32 v13, v3
	ds_write_b32 v14, v2
	s_waitcnt lgkmcnt(0)
	s_barrier
	s_and_saveexec_b64 s[4:5], s[2:3]
	s_cbranch_execz .LBB2_56
; %bb.53:                               ;   in Loop: Header=BB2_43 Depth=1
	ds_read_b32 v27, v15
	s_waitcnt lgkmcnt(0)
	v_cmp_eq_u32_e32 vcc, v3, v27
	s_and_saveexec_b64 s[38:39], vcc
	s_cbranch_execz .LBB2_55
; %bb.54:                               ;   in Loop: Header=BB2_43 Depth=1
	v_add_u32_e32 v27, -4, v14
	ds_read_b32 v27, v27
	s_waitcnt lgkmcnt(0)
	v_add_f32_e32 v2, v2, v27
.LBB2_55:                               ;   in Loop: Header=BB2_43 Depth=1
	s_or_b64 exec, exec, s[38:39]
.LBB2_56:                               ;   in Loop: Header=BB2_43 Depth=1
	s_or_b64 exec, exec, s[4:5]
	s_barrier
	ds_write_b32 v14, v2
	s_waitcnt lgkmcnt(0)
	s_barrier
	s_and_saveexec_b64 s[4:5], s[22:23]
	s_cbranch_execz .LBB2_60
; %bb.57:                               ;   in Loop: Header=BB2_43 Depth=1
	ds_read_b32 v27, v16
	s_waitcnt lgkmcnt(0)
	v_cmp_eq_u32_e32 vcc, v3, v27
	s_and_saveexec_b64 s[38:39], vcc
	s_cbranch_execz .LBB2_59
; %bb.58:                               ;   in Loop: Header=BB2_43 Depth=1
	v_add_u32_e32 v27, -8, v14
	ds_read_b32 v27, v27
	s_waitcnt lgkmcnt(0)
	v_add_f32_e32 v2, v2, v27
.LBB2_59:                               ;   in Loop: Header=BB2_43 Depth=1
	s_or_b64 exec, exec, s[38:39]
.LBB2_60:                               ;   in Loop: Header=BB2_43 Depth=1
	s_or_b64 exec, exec, s[4:5]
	s_barrier
	;; [unrolled: 21-line block ×3, first 2 shown]
	ds_write_b32 v14, v2
	s_waitcnt lgkmcnt(0)
	s_barrier
	s_and_saveexec_b64 s[4:5], s[10:11]
	s_cbranch_execz .LBB2_68
; %bb.65:                               ;   in Loop: Header=BB2_43 Depth=1
	ds_read_b32 v27, v18
	s_waitcnt lgkmcnt(0)
	v_cmp_eq_u32_e32 vcc, v3, v27
	s_and_saveexec_b64 s[38:39], vcc
	s_cbranch_execz .LBB2_67
; %bb.66:                               ;   in Loop: Header=BB2_43 Depth=1
	ds_read_b32 v27, v20
	s_waitcnt lgkmcnt(0)
	v_add_f32_e32 v2, v2, v27
.LBB2_67:                               ;   in Loop: Header=BB2_43 Depth=1
	s_or_b64 exec, exec, s[38:39]
.LBB2_68:                               ;   in Loop: Header=BB2_43 Depth=1
	s_or_b64 exec, exec, s[4:5]
	s_barrier
	ds_write_b32 v14, v2
	s_waitcnt lgkmcnt(0)
	s_barrier
	s_and_saveexec_b64 s[4:5], s[12:13]
	s_cbranch_execz .LBB2_72
; %bb.69:                               ;   in Loop: Header=BB2_43 Depth=1
	ds_read_b32 v27, v19
	s_waitcnt lgkmcnt(0)
	v_cmp_eq_u32_e32 vcc, v3, v27
	s_and_saveexec_b64 s[38:39], vcc
	s_cbranch_execz .LBB2_71
; %bb.70:                               ;   in Loop: Header=BB2_43 Depth=1
	ds_read_b32 v27, v21
	s_waitcnt lgkmcnt(0)
	v_add_f32_e32 v2, v2, v27
.LBB2_71:                               ;   in Loop: Header=BB2_43 Depth=1
	s_or_b64 exec, exec, s[38:39]
.LBB2_72:                               ;   in Loop: Header=BB2_43 Depth=1
	s_or_b64 exec, exec, s[4:5]
	s_barrier
	;; [unrolled: 20-line block ×5, first 2 shown]
	ds_write_b32 v14, v2
	s_waitcnt lgkmcnt(0)
	s_barrier
	s_and_saveexec_b64 s[38:39], s[20:21]
	s_cbranch_execz .LBB2_42
; %bb.85:                               ;   in Loop: Header=BB2_43 Depth=1
	ds_read_b32 v27, v13 offset:4
	v_cmp_lt_i32_e64 s[4:5], -1, v3
	s_waitcnt lgkmcnt(0)
	v_cmp_ne_u32_e32 vcc, v3, v27
	s_and_b64 s[4:5], s[4:5], vcc
	s_and_b64 exec, exec, s[4:5]
	s_cbranch_execz .LBB2_42
; %bb.86:                               ;   in Loop: Header=BB2_43 Depth=1
	v_lshlrev_b64 v[27:28], 2, v[3:4]
	v_mov_b32_e32 v29, s45
	v_add_co_u32_e32 v27, vcc, s44, v27
	v_addc_co_u32_e32 v28, vcc, v29, v28, vcc
	global_load_dword v29, v[27:28], off
	s_waitcnt vmcnt(0)
	v_fmac_f32_e32 v29, s28, v2
	global_store_dword v[27:28], v29, off
	s_branch .LBB2_42
.LBB2_87:
	s_movk_i32 s0, 0xff
	v_cmp_eq_u32_e32 vcc, s0, v0
	s_and_saveexec_b64 s[0:1], vcc
	s_cbranch_execz .LBB2_89
; %bb.88:
	s_mov_b32 s7, 0
	s_lshl_b64 s[0:1], s[6:7], 2
	s_waitcnt lgkmcnt(0)
	s_add_u32 s2, s24, s0
	s_addc_u32 s3, s25, s1
	v_mov_b32_e32 v0, 0
	s_add_u32 s0, s26, s0
	v_mul_f32_e32 v1, s28, v2
	s_addc_u32 s1, s27, s1
	global_store_dword v0, v3, s[2:3] glc slc
	global_store_dword v0, v1, s[0:1] glc slc
.LBB2_89:
	s_endpgm
	.section	.rodata,"a",@progbits
	.p2align	6, 0x0
	.amdhsa_kernel _ZN9rocsparseL22coomvn_segmented_loopsILj256EiffffEEvlT0_NS_24const_host_device_scalarIT4_EEPKS1_S6_PKT1_PKT2_PT3_PS1_PS3_21rocsparse_index_base_b
		.amdhsa_group_segment_fixed_size 2048
		.amdhsa_private_segment_fixed_size 0
		.amdhsa_kernarg_size 88
		.amdhsa_user_sgpr_count 6
		.amdhsa_user_sgpr_private_segment_buffer 1
		.amdhsa_user_sgpr_dispatch_ptr 0
		.amdhsa_user_sgpr_queue_ptr 0
		.amdhsa_user_sgpr_kernarg_segment_ptr 1
		.amdhsa_user_sgpr_dispatch_id 0
		.amdhsa_user_sgpr_flat_scratch_init 0
		.amdhsa_user_sgpr_private_segment_size 0
		.amdhsa_uses_dynamic_stack 0
		.amdhsa_system_sgpr_private_segment_wavefront_offset 0
		.amdhsa_system_sgpr_workgroup_id_x 1
		.amdhsa_system_sgpr_workgroup_id_y 0
		.amdhsa_system_sgpr_workgroup_id_z 0
		.amdhsa_system_sgpr_workgroup_info 0
		.amdhsa_system_vgpr_workitem_id 0
		.amdhsa_next_free_vgpr 30
		.amdhsa_next_free_sgpr 46
		.amdhsa_reserve_vcc 1
		.amdhsa_reserve_flat_scratch 0
		.amdhsa_float_round_mode_32 0
		.amdhsa_float_round_mode_16_64 0
		.amdhsa_float_denorm_mode_32 3
		.amdhsa_float_denorm_mode_16_64 3
		.amdhsa_dx10_clamp 1
		.amdhsa_ieee_mode 1
		.amdhsa_fp16_overflow 0
		.amdhsa_exception_fp_ieee_invalid_op 0
		.amdhsa_exception_fp_denorm_src 0
		.amdhsa_exception_fp_ieee_div_zero 0
		.amdhsa_exception_fp_ieee_overflow 0
		.amdhsa_exception_fp_ieee_underflow 0
		.amdhsa_exception_fp_ieee_inexact 0
		.amdhsa_exception_int_div_zero 0
	.end_amdhsa_kernel
	.section	.text._ZN9rocsparseL22coomvn_segmented_loopsILj256EiffffEEvlT0_NS_24const_host_device_scalarIT4_EEPKS1_S6_PKT1_PKT2_PT3_PS1_PS3_21rocsparse_index_base_b,"axG",@progbits,_ZN9rocsparseL22coomvn_segmented_loopsILj256EiffffEEvlT0_NS_24const_host_device_scalarIT4_EEPKS1_S6_PKT1_PKT2_PT3_PS1_PS3_21rocsparse_index_base_b,comdat
.Lfunc_end2:
	.size	_ZN9rocsparseL22coomvn_segmented_loopsILj256EiffffEEvlT0_NS_24const_host_device_scalarIT4_EEPKS1_S6_PKT1_PKT2_PT3_PS1_PS3_21rocsparse_index_base_b, .Lfunc_end2-_ZN9rocsparseL22coomvn_segmented_loopsILj256EiffffEEvlT0_NS_24const_host_device_scalarIT4_EEPKS1_S6_PKT1_PKT2_PT3_PS1_PS3_21rocsparse_index_base_b
                                        ; -- End function
	.set _ZN9rocsparseL22coomvn_segmented_loopsILj256EiffffEEvlT0_NS_24const_host_device_scalarIT4_EEPKS1_S6_PKT1_PKT2_PT3_PS1_PS3_21rocsparse_index_base_b.num_vgpr, 30
	.set _ZN9rocsparseL22coomvn_segmented_loopsILj256EiffffEEvlT0_NS_24const_host_device_scalarIT4_EEPKS1_S6_PKT1_PKT2_PT3_PS1_PS3_21rocsparse_index_base_b.num_agpr, 0
	.set _ZN9rocsparseL22coomvn_segmented_loopsILj256EiffffEEvlT0_NS_24const_host_device_scalarIT4_EEPKS1_S6_PKT1_PKT2_PT3_PS1_PS3_21rocsparse_index_base_b.numbered_sgpr, 46
	.set _ZN9rocsparseL22coomvn_segmented_loopsILj256EiffffEEvlT0_NS_24const_host_device_scalarIT4_EEPKS1_S6_PKT1_PKT2_PT3_PS1_PS3_21rocsparse_index_base_b.num_named_barrier, 0
	.set _ZN9rocsparseL22coomvn_segmented_loopsILj256EiffffEEvlT0_NS_24const_host_device_scalarIT4_EEPKS1_S6_PKT1_PKT2_PT3_PS1_PS3_21rocsparse_index_base_b.private_seg_size, 0
	.set _ZN9rocsparseL22coomvn_segmented_loopsILj256EiffffEEvlT0_NS_24const_host_device_scalarIT4_EEPKS1_S6_PKT1_PKT2_PT3_PS1_PS3_21rocsparse_index_base_b.uses_vcc, 1
	.set _ZN9rocsparseL22coomvn_segmented_loopsILj256EiffffEEvlT0_NS_24const_host_device_scalarIT4_EEPKS1_S6_PKT1_PKT2_PT3_PS1_PS3_21rocsparse_index_base_b.uses_flat_scratch, 0
	.set _ZN9rocsparseL22coomvn_segmented_loopsILj256EiffffEEvlT0_NS_24const_host_device_scalarIT4_EEPKS1_S6_PKT1_PKT2_PT3_PS1_PS3_21rocsparse_index_base_b.has_dyn_sized_stack, 0
	.set _ZN9rocsparseL22coomvn_segmented_loopsILj256EiffffEEvlT0_NS_24const_host_device_scalarIT4_EEPKS1_S6_PKT1_PKT2_PT3_PS1_PS3_21rocsparse_index_base_b.has_recursion, 0
	.set _ZN9rocsparseL22coomvn_segmented_loopsILj256EiffffEEvlT0_NS_24const_host_device_scalarIT4_EEPKS1_S6_PKT1_PKT2_PT3_PS1_PS3_21rocsparse_index_base_b.has_indirect_call, 0
	.section	.AMDGPU.csdata,"",@progbits
; Kernel info:
; codeLenInByte = 2460
; TotalNumSgprs: 50
; NumVgprs: 30
; ScratchSize: 0
; MemoryBound: 0
; FloatMode: 240
; IeeeMode: 1
; LDSByteSize: 2048 bytes/workgroup (compile time only)
; SGPRBlocks: 6
; VGPRBlocks: 7
; NumSGPRsForWavesPerEU: 50
; NumVGPRsForWavesPerEU: 30
; Occupancy: 8
; WaveLimiterHint : 1
; COMPUTE_PGM_RSRC2:SCRATCH_EN: 0
; COMPUTE_PGM_RSRC2:USER_SGPR: 6
; COMPUTE_PGM_RSRC2:TRAP_HANDLER: 0
; COMPUTE_PGM_RSRC2:TGID_X_EN: 1
; COMPUTE_PGM_RSRC2:TGID_Y_EN: 0
; COMPUTE_PGM_RSRC2:TGID_Z_EN: 0
; COMPUTE_PGM_RSRC2:TIDIG_COMP_CNT: 0
	.section	.text._ZN9rocsparseL29coomvn_segmented_loops_reduceILj256EiffEEvT0_NS_24const_host_device_scalarIT2_EEPKS1_PKS3_PT1_b,"axG",@progbits,_ZN9rocsparseL29coomvn_segmented_loops_reduceILj256EiffEEvT0_NS_24const_host_device_scalarIT2_EEPKS1_PKS3_PT1_b,comdat
	.globl	_ZN9rocsparseL29coomvn_segmented_loops_reduceILj256EiffEEvT0_NS_24const_host_device_scalarIT2_EEPKS1_PKS3_PT1_b ; -- Begin function _ZN9rocsparseL29coomvn_segmented_loops_reduceILj256EiffEEvT0_NS_24const_host_device_scalarIT2_EEPKS1_PKS3_PT1_b
	.p2align	8
	.type	_ZN9rocsparseL29coomvn_segmented_loops_reduceILj256EiffEEvT0_NS_24const_host_device_scalarIT2_EEPKS1_PKS3_PT1_b,@function
_ZN9rocsparseL29coomvn_segmented_loops_reduceILj256EiffEEvT0_NS_24const_host_device_scalarIT2_EEPKS1_PKS3_PT1_b: ; @_ZN9rocsparseL29coomvn_segmented_loops_reduceILj256EiffEEvT0_NS_24const_host_device_scalarIT2_EEPKS1_PKS3_PT1_b
; %bb.0:
	s_load_dword s2, s[4:5], 0x28
	s_load_dwordx2 s[0:1], s[4:5], 0x8
	s_waitcnt lgkmcnt(0)
	s_bitcmp1_b32 s2, 0
	s_cselect_b64 s[2:3], -1, 0
	s_and_b64 vcc, exec, s[2:3]
	s_cbranch_vccnz .LBB3_2
; %bb.1:
	s_load_dword s0, s[0:1], 0x0
.LBB3_2:
	s_waitcnt lgkmcnt(0)
	v_cmp_eq_f32_e64 s[0:1], s0, 0
	s_and_b64 vcc, exec, s[0:1]
	s_cbranch_vccnz .LBB3_44
; %bb.3:
	s_load_dword s28, s[4:5], 0x0
	s_waitcnt lgkmcnt(0)
	s_cmp_lt_i32 s28, 1
	s_cbranch_scc1 .LBB3_44
; %bb.4:
	v_subrev_co_u32_e32 v1, vcc, 1, v0
	v_mov_b32_e32 v2, 0x400
	s_load_dwordx4 s[8:11], s[4:5], 0x10
	s_load_dwordx2 s[6:7], s[4:5], 0x20
	s_xor_b64 s[4:5], vcc, -1
	v_lshl_add_u32 v7, v1, 2, v2
	v_subrev_co_u32_e32 v1, vcc, 2, v0
	s_xor_b64 s[12:13], vcc, -1
	v_lshl_add_u32 v8, v1, 2, v2
	v_subrev_co_u32_e32 v1, vcc, 4, v0
	s_xor_b64 s[14:15], vcc, -1
	v_lshl_add_u32 v10, v1, 2, v2
	v_subrev_co_u32_e32 v1, vcc, 8, v0
	s_xor_b64 s[16:17], vcc, -1
	v_lshl_add_u32 v12, v1, 2, v2
	v_subrev_co_u32_e32 v1, vcc, 16, v0
	s_xor_b64 s[18:19], vcc, -1
	v_lshl_add_u32 v14, v1, 2, v2
	v_subrev_co_u32_e32 v1, vcc, 32, v0
	s_xor_b64 s[20:21], vcc, -1
	v_lshl_add_u32 v16, v1, 2, v2
	v_subrev_co_u32_e32 v1, vcc, 64, v0
	s_movk_i32 s0, 0x80
	v_lshlrev_b32_e32 v5, 2, v0
	s_xor_b64 s[22:23], vcc, -1
	v_lshl_add_u32 v18, v1, 2, v2
	v_subrev_co_u32_e32 v1, vcc, s0, v0
	s_movk_i32 s0, 0xff
	v_or_b32_e32 v6, 0x400, v5
	v_add_u32_e32 v9, -16, v5
	v_subrev_u32_e32 v11, 32, v5
	v_subrev_u32_e32 v13, 64, v5
	v_add_u32_e32 v15, 0xffffff80, v5
	v_add_u32_e32 v17, 0xffffff00, v5
	s_xor_b64 s[24:25], vcc, -1
	v_add_u32_e32 v19, 0xfffffe00, v5
	v_lshl_add_u32 v20, v1, 2, v2
	v_cmp_gt_u32_e32 vcc, s0, v0
	s_mov_b32 s29, 0
	v_mov_b32_e32 v2, 0
	s_branch .LBB3_6
.LBB3_5:                                ;   in Loop: Header=BB3_6 Depth=1
	s_or_b64 exec, exec, s[2:3]
	s_addk_i32 s29, 0x100
	s_cmp_lt_i32 s29, s28
	s_waitcnt vmcnt(0)
	s_barrier
	s_cbranch_scc0 .LBB3_44
.LBB3_6:                                ; =>This Inner Loop Header: Depth=1
	v_add_u32_e32 v3, s29, v0
	v_cmp_gt_i32_e64 s[0:1], s28, v3
	v_mov_b32_e32 v1, -1
	v_mov_b32_e32 v4, 0
	s_and_saveexec_b64 s[2:3], s[0:1]
	s_cbranch_execz .LBB3_8
; %bb.7:                                ;   in Loop: Header=BB3_6 Depth=1
	v_ashrrev_i32_e32 v4, 31, v3
	v_lshlrev_b64 v[3:4], 2, v[3:4]
	s_waitcnt lgkmcnt(0)
	v_mov_b32_e32 v1, s11
	v_add_co_u32_e64 v21, s[0:1], s10, v3
	v_addc_co_u32_e64 v22, s[0:1], v1, v4, s[0:1]
	v_mov_b32_e32 v1, s9
	v_add_co_u32_e64 v23, s[0:1], s8, v3
	v_addc_co_u32_e64 v24, s[0:1], v1, v4, s[0:1]
	global_load_dword v1, v[23:24], off
	global_load_dword v4, v[21:22], off
.LBB3_8:                                ;   in Loop: Header=BB3_6 Depth=1
	s_or_b64 exec, exec, s[2:3]
	s_waitcnt vmcnt(1)
	ds_write_b32 v5, v1
	s_waitcnt vmcnt(0)
	ds_write_b32 v6, v4
	v_mov_b32_e32 v1, 0
	v_mov_b32_e32 v3, 0
	s_waitcnt lgkmcnt(0)
	s_barrier
	s_and_saveexec_b64 s[2:3], s[4:5]
	s_cbranch_execz .LBB3_12
; %bb.9:                                ;   in Loop: Header=BB3_6 Depth=1
	v_add_u32_e32 v3, -4, v5
	ds_read2_b32 v[3:4], v3 offset1:1
	s_waitcnt lgkmcnt(0)
	v_cmp_eq_u32_e64 s[0:1], v4, v3
	v_mov_b32_e32 v3, 0
	s_and_saveexec_b64 s[26:27], s[0:1]
; %bb.10:                               ;   in Loop: Header=BB3_6 Depth=1
	ds_read_b32 v3, v7
; %bb.11:                               ;   in Loop: Header=BB3_6 Depth=1
	s_or_b64 exec, exec, s[26:27]
.LBB3_12:                               ;   in Loop: Header=BB3_6 Depth=1
	s_or_b64 exec, exec, s[2:3]
	s_waitcnt lgkmcnt(0)
	s_barrier
	ds_read_b32 v4, v6
	s_waitcnt lgkmcnt(0)
	v_add_f32_e32 v3, v3, v4
	ds_write_b32 v6, v3
	s_waitcnt lgkmcnt(0)
	s_barrier
	s_and_saveexec_b64 s[2:3], s[12:13]
	s_cbranch_execz .LBB3_16
; %bb.13:                               ;   in Loop: Header=BB3_6 Depth=1
	v_add_u32_e32 v1, -8, v5
	ds_read_b32 v3, v5
	ds_read_b32 v1, v1
	s_waitcnt lgkmcnt(0)
	v_cmp_eq_u32_e64 s[0:1], v3, v1
	v_mov_b32_e32 v1, 0
	s_and_saveexec_b64 s[26:27], s[0:1]
; %bb.14:                               ;   in Loop: Header=BB3_6 Depth=1
	ds_read_b32 v1, v8
; %bb.15:                               ;   in Loop: Header=BB3_6 Depth=1
	s_or_b64 exec, exec, s[26:27]
.LBB3_16:                               ;   in Loop: Header=BB3_6 Depth=1
	s_or_b64 exec, exec, s[2:3]
	s_waitcnt lgkmcnt(0)
	s_barrier
	ds_read_b32 v3, v6
	s_waitcnt lgkmcnt(0)
	v_add_f32_e32 v1, v1, v3
	ds_write_b32 v6, v1
	v_mov_b32_e32 v1, 0
	v_mov_b32_e32 v3, 0
	s_waitcnt lgkmcnt(0)
	s_barrier
	s_and_saveexec_b64 s[2:3], s[14:15]
	s_cbranch_execz .LBB3_20
; %bb.17:                               ;   in Loop: Header=BB3_6 Depth=1
	ds_read_b32 v3, v5
	ds_read_b32 v4, v9
	s_waitcnt lgkmcnt(0)
	v_cmp_eq_u32_e64 s[0:1], v3, v4
	v_mov_b32_e32 v3, 0
	s_and_saveexec_b64 s[26:27], s[0:1]
; %bb.18:                               ;   in Loop: Header=BB3_6 Depth=1
	ds_read_b32 v3, v10
; %bb.19:                               ;   in Loop: Header=BB3_6 Depth=1
	s_or_b64 exec, exec, s[26:27]
.LBB3_20:                               ;   in Loop: Header=BB3_6 Depth=1
	s_or_b64 exec, exec, s[2:3]
	s_waitcnt lgkmcnt(0)
	s_barrier
	ds_read_b32 v4, v6
	s_waitcnt lgkmcnt(0)
	v_add_f32_e32 v3, v3, v4
	ds_write_b32 v6, v3
	s_waitcnt lgkmcnt(0)
	s_barrier
	s_and_saveexec_b64 s[2:3], s[16:17]
	s_cbranch_execz .LBB3_24
; %bb.21:                               ;   in Loop: Header=BB3_6 Depth=1
	ds_read_b32 v1, v5
	ds_read_b32 v3, v11
	s_waitcnt lgkmcnt(0)
	v_cmp_eq_u32_e64 s[0:1], v1, v3
	v_mov_b32_e32 v1, 0
	s_and_saveexec_b64 s[26:27], s[0:1]
; %bb.22:                               ;   in Loop: Header=BB3_6 Depth=1
	ds_read_b32 v1, v12
; %bb.23:                               ;   in Loop: Header=BB3_6 Depth=1
	s_or_b64 exec, exec, s[26:27]
.LBB3_24:                               ;   in Loop: Header=BB3_6 Depth=1
	s_or_b64 exec, exec, s[2:3]
	s_waitcnt lgkmcnt(0)
	s_barrier
	ds_read_b32 v3, v6
	s_waitcnt lgkmcnt(0)
	v_add_f32_e32 v1, v1, v3
	ds_write_b32 v6, v1
	v_mov_b32_e32 v1, 0
	v_mov_b32_e32 v3, 0
	s_waitcnt lgkmcnt(0)
	s_barrier
	s_and_saveexec_b64 s[2:3], s[18:19]
	s_cbranch_execz .LBB3_28
; %bb.25:                               ;   in Loop: Header=BB3_6 Depth=1
	ds_read_b32 v3, v5
	ds_read_b32 v4, v13
	s_waitcnt lgkmcnt(0)
	v_cmp_eq_u32_e64 s[0:1], v3, v4
	v_mov_b32_e32 v3, 0
	s_and_saveexec_b64 s[26:27], s[0:1]
; %bb.26:                               ;   in Loop: Header=BB3_6 Depth=1
	ds_read_b32 v3, v14
; %bb.27:                               ;   in Loop: Header=BB3_6 Depth=1
	s_or_b64 exec, exec, s[26:27]
.LBB3_28:                               ;   in Loop: Header=BB3_6 Depth=1
	s_or_b64 exec, exec, s[2:3]
	s_waitcnt lgkmcnt(0)
	s_barrier
	ds_read_b32 v4, v6
	s_waitcnt lgkmcnt(0)
	v_add_f32_e32 v3, v3, v4
	ds_write_b32 v6, v3
	s_waitcnt lgkmcnt(0)
	s_barrier
	s_and_saveexec_b64 s[2:3], s[20:21]
	s_cbranch_execz .LBB3_32
; %bb.29:                               ;   in Loop: Header=BB3_6 Depth=1
	ds_read_b32 v1, v5
	ds_read_b32 v3, v15
	s_waitcnt lgkmcnt(0)
	v_cmp_eq_u32_e64 s[0:1], v1, v3
	v_mov_b32_e32 v1, 0
	s_and_saveexec_b64 s[26:27], s[0:1]
; %bb.30:                               ;   in Loop: Header=BB3_6 Depth=1
	ds_read_b32 v1, v16
; %bb.31:                               ;   in Loop: Header=BB3_6 Depth=1
	s_or_b64 exec, exec, s[26:27]
.LBB3_32:                               ;   in Loop: Header=BB3_6 Depth=1
	;; [unrolled: 48-line block ×3, first 2 shown]
	s_or_b64 exec, exec, s[2:3]
	s_waitcnt lgkmcnt(0)
	s_barrier
	ds_read_b32 v3, v6
	s_waitcnt lgkmcnt(0)
	v_add_f32_e32 v1, v1, v3
	ds_write_b32 v6, v1
	s_waitcnt lgkmcnt(0)
	s_barrier
	ds_read_b32 v1, v5
	v_mov_b32_e32 v3, -1
	s_and_saveexec_b64 s[0:1], vcc
; %bb.41:                               ;   in Loop: Header=BB3_6 Depth=1
	ds_read_b32 v3, v5 offset:4
; %bb.42:                               ;   in Loop: Header=BB3_6 Depth=1
	s_or_b64 exec, exec, s[0:1]
	s_waitcnt lgkmcnt(0)
	v_cmp_ne_u32_e64 s[0:1], v1, v3
	v_cmp_lt_i32_e64 s[2:3], -1, v1
	s_and_b64 s[0:1], s[2:3], s[0:1]
	s_and_saveexec_b64 s[2:3], s[0:1]
	s_cbranch_execz .LBB3_5
; %bb.43:                               ;   in Loop: Header=BB3_6 Depth=1
	v_lshlrev_b64 v[3:4], 2, v[1:2]
	v_mov_b32_e32 v1, s7
	v_add_co_u32_e64 v3, s[0:1], s6, v3
	v_addc_co_u32_e64 v4, s[0:1], v1, v4, s[0:1]
	global_load_dword v1, v[3:4], off
	ds_read_b32 v21, v6
	s_waitcnt vmcnt(0) lgkmcnt(0)
	v_add_f32_e32 v1, v1, v21
	global_store_dword v[3:4], v1, off
	s_branch .LBB3_5
.LBB3_44:
	s_endpgm
	.section	.rodata,"a",@progbits
	.p2align	6, 0x0
	.amdhsa_kernel _ZN9rocsparseL29coomvn_segmented_loops_reduceILj256EiffEEvT0_NS_24const_host_device_scalarIT2_EEPKS1_PKS3_PT1_b
		.amdhsa_group_segment_fixed_size 2048
		.amdhsa_private_segment_fixed_size 0
		.amdhsa_kernarg_size 44
		.amdhsa_user_sgpr_count 6
		.amdhsa_user_sgpr_private_segment_buffer 1
		.amdhsa_user_sgpr_dispatch_ptr 0
		.amdhsa_user_sgpr_queue_ptr 0
		.amdhsa_user_sgpr_kernarg_segment_ptr 1
		.amdhsa_user_sgpr_dispatch_id 0
		.amdhsa_user_sgpr_flat_scratch_init 0
		.amdhsa_user_sgpr_private_segment_size 0
		.amdhsa_uses_dynamic_stack 0
		.amdhsa_system_sgpr_private_segment_wavefront_offset 0
		.amdhsa_system_sgpr_workgroup_id_x 1
		.amdhsa_system_sgpr_workgroup_id_y 0
		.amdhsa_system_sgpr_workgroup_id_z 0
		.amdhsa_system_sgpr_workgroup_info 0
		.amdhsa_system_vgpr_workitem_id 0
		.amdhsa_next_free_vgpr 25
		.amdhsa_next_free_sgpr 30
		.amdhsa_reserve_vcc 1
		.amdhsa_reserve_flat_scratch 0
		.amdhsa_float_round_mode_32 0
		.amdhsa_float_round_mode_16_64 0
		.amdhsa_float_denorm_mode_32 3
		.amdhsa_float_denorm_mode_16_64 3
		.amdhsa_dx10_clamp 1
		.amdhsa_ieee_mode 1
		.amdhsa_fp16_overflow 0
		.amdhsa_exception_fp_ieee_invalid_op 0
		.amdhsa_exception_fp_denorm_src 0
		.amdhsa_exception_fp_ieee_div_zero 0
		.amdhsa_exception_fp_ieee_overflow 0
		.amdhsa_exception_fp_ieee_underflow 0
		.amdhsa_exception_fp_ieee_inexact 0
		.amdhsa_exception_int_div_zero 0
	.end_amdhsa_kernel
	.section	.text._ZN9rocsparseL29coomvn_segmented_loops_reduceILj256EiffEEvT0_NS_24const_host_device_scalarIT2_EEPKS1_PKS3_PT1_b,"axG",@progbits,_ZN9rocsparseL29coomvn_segmented_loops_reduceILj256EiffEEvT0_NS_24const_host_device_scalarIT2_EEPKS1_PKS3_PT1_b,comdat
.Lfunc_end3:
	.size	_ZN9rocsparseL29coomvn_segmented_loops_reduceILj256EiffEEvT0_NS_24const_host_device_scalarIT2_EEPKS1_PKS3_PT1_b, .Lfunc_end3-_ZN9rocsparseL29coomvn_segmented_loops_reduceILj256EiffEEvT0_NS_24const_host_device_scalarIT2_EEPKS1_PKS3_PT1_b
                                        ; -- End function
	.set _ZN9rocsparseL29coomvn_segmented_loops_reduceILj256EiffEEvT0_NS_24const_host_device_scalarIT2_EEPKS1_PKS3_PT1_b.num_vgpr, 25
	.set _ZN9rocsparseL29coomvn_segmented_loops_reduceILj256EiffEEvT0_NS_24const_host_device_scalarIT2_EEPKS1_PKS3_PT1_b.num_agpr, 0
	.set _ZN9rocsparseL29coomvn_segmented_loops_reduceILj256EiffEEvT0_NS_24const_host_device_scalarIT2_EEPKS1_PKS3_PT1_b.numbered_sgpr, 30
	.set _ZN9rocsparseL29coomvn_segmented_loops_reduceILj256EiffEEvT0_NS_24const_host_device_scalarIT2_EEPKS1_PKS3_PT1_b.num_named_barrier, 0
	.set _ZN9rocsparseL29coomvn_segmented_loops_reduceILj256EiffEEvT0_NS_24const_host_device_scalarIT2_EEPKS1_PKS3_PT1_b.private_seg_size, 0
	.set _ZN9rocsparseL29coomvn_segmented_loops_reduceILj256EiffEEvT0_NS_24const_host_device_scalarIT2_EEPKS1_PKS3_PT1_b.uses_vcc, 1
	.set _ZN9rocsparseL29coomvn_segmented_loops_reduceILj256EiffEEvT0_NS_24const_host_device_scalarIT2_EEPKS1_PKS3_PT1_b.uses_flat_scratch, 0
	.set _ZN9rocsparseL29coomvn_segmented_loops_reduceILj256EiffEEvT0_NS_24const_host_device_scalarIT2_EEPKS1_PKS3_PT1_b.has_dyn_sized_stack, 0
	.set _ZN9rocsparseL29coomvn_segmented_loops_reduceILj256EiffEEvT0_NS_24const_host_device_scalarIT2_EEPKS1_PKS3_PT1_b.has_recursion, 0
	.set _ZN9rocsparseL29coomvn_segmented_loops_reduceILj256EiffEEvT0_NS_24const_host_device_scalarIT2_EEPKS1_PKS3_PT1_b.has_indirect_call, 0
	.section	.AMDGPU.csdata,"",@progbits
; Kernel info:
; codeLenInByte = 1428
; TotalNumSgprs: 34
; NumVgprs: 25
; ScratchSize: 0
; MemoryBound: 0
; FloatMode: 240
; IeeeMode: 1
; LDSByteSize: 2048 bytes/workgroup (compile time only)
; SGPRBlocks: 4
; VGPRBlocks: 6
; NumSGPRsForWavesPerEU: 34
; NumVGPRsForWavesPerEU: 25
; Occupancy: 9
; WaveLimiterHint : 0
; COMPUTE_PGM_RSRC2:SCRATCH_EN: 0
; COMPUTE_PGM_RSRC2:USER_SGPR: 6
; COMPUTE_PGM_RSRC2:TRAP_HANDLER: 0
; COMPUTE_PGM_RSRC2:TGID_X_EN: 1
; COMPUTE_PGM_RSRC2:TGID_Y_EN: 0
; COMPUTE_PGM_RSRC2:TGID_Z_EN: 0
; COMPUTE_PGM_RSRC2:TIDIG_COMP_CNT: 0
	.section	.text._ZN9rocsparseL13coomvt_kernelILj1024EiffffEEv20rocsparse_operation_lNS_24const_host_device_scalarIT4_EEPKT0_S7_PKT1_PKT2_PT3_21rocsparse_index_base_b,"axG",@progbits,_ZN9rocsparseL13coomvt_kernelILj1024EiffffEEv20rocsparse_operation_lNS_24const_host_device_scalarIT4_EEPKT0_S7_PKT1_PKT2_PT3_21rocsparse_index_base_b,comdat
	.globl	_ZN9rocsparseL13coomvt_kernelILj1024EiffffEEv20rocsparse_operation_lNS_24const_host_device_scalarIT4_EEPKT0_S7_PKT1_PKT2_PT3_21rocsparse_index_base_b ; -- Begin function _ZN9rocsparseL13coomvt_kernelILj1024EiffffEEv20rocsparse_operation_lNS_24const_host_device_scalarIT4_EEPKT0_S7_PKT1_PKT2_PT3_21rocsparse_index_base_b
	.p2align	8
	.type	_ZN9rocsparseL13coomvt_kernelILj1024EiffffEEv20rocsparse_operation_lNS_24const_host_device_scalarIT4_EEPKT0_S7_PKT1_PKT2_PT3_21rocsparse_index_base_b,@function
_ZN9rocsparseL13coomvt_kernelILj1024EiffffEEv20rocsparse_operation_lNS_24const_host_device_scalarIT4_EEPKT0_S7_PKT1_PKT2_PT3_21rocsparse_index_base_b: ; @_ZN9rocsparseL13coomvt_kernelILj1024EiffffEEv20rocsparse_operation_lNS_24const_host_device_scalarIT4_EEPKT0_S7_PKT1_PKT2_PT3_21rocsparse_index_base_b
; %bb.0:
	s_load_dwordx2 s[16:17], s[4:5], 0x40
	s_load_dwordx4 s[0:3], s[4:5], 0x8
	s_waitcnt lgkmcnt(0)
	s_bitcmp1_b32 s17, 0
	s_cselect_b64 s[8:9], -1, 0
	s_and_b64 vcc, exec, s[8:9]
	s_cbranch_vccnz .LBB4_2
; %bb.1:
	s_load_dword s2, s[2:3], 0x0
.LBB4_2:
	s_waitcnt lgkmcnt(0)
	v_cmp_eq_f32_e64 s[8:9], s2, 0
	s_and_b64 vcc, exec, s[8:9]
	s_cbranch_vccnz .LBB4_6
; %bb.3:
	s_load_dword s3, s[4:5], 0x54
	v_mov_b32_e32 v1, 0
	s_waitcnt lgkmcnt(0)
	s_and_b32 s3, s3, 0xffff
	s_mul_i32 s6, s6, s3
	v_add_u32_e32 v0, s6, v0
	v_cmp_gt_i64_e32 vcc, s[0:1], v[0:1]
	s_and_saveexec_b64 s[0:1], vcc
	s_cbranch_execz .LBB4_6
; %bb.4:
	s_load_dwordx8 s[8:15], s[4:5], 0x18
	v_lshlrev_b64 v[0:1], 2, v[0:1]
	s_load_dwordx2 s[0:1], s[4:5], 0x38
	s_waitcnt lgkmcnt(0)
	v_mov_b32_e32 v3, s9
	v_add_co_u32_e32 v2, vcc, s8, v0
	v_addc_co_u32_e32 v3, vcc, v3, v1, vcc
	global_load_dword v4, v[2:3], off
	v_mov_b32_e32 v3, s11
	v_add_co_u32_e32 v2, vcc, s10, v0
	v_addc_co_u32_e32 v3, vcc, v3, v1, vcc
	global_load_dword v2, v[2:3], off
	v_mov_b32_e32 v3, s13
	v_add_co_u32_e32 v0, vcc, s12, v0
	v_addc_co_u32_e32 v1, vcc, v3, v1, vcc
	global_load_dword v7, v[0:1], off
	v_mov_b32_e32 v6, s15
	v_mov_b32_e32 v5, s1
	s_waitcnt vmcnt(2)
	v_subrev_u32_e32 v0, s16, v4
	v_ashrrev_i32_e32 v1, 31, v0
	v_lshlrev_b64 v[0:1], 2, v[0:1]
	v_add_co_u32_e32 v0, vcc, s14, v0
	s_waitcnt vmcnt(1)
	v_subrev_u32_e32 v2, s16, v2
	v_ashrrev_i32_e32 v3, 31, v2
	v_lshlrev_b64 v[2:3], 2, v[2:3]
	v_addc_co_u32_e32 v1, vcc, v6, v1, vcc
	global_load_dword v4, v[0:1], off
	v_add_co_u32_e32 v0, vcc, s0, v2
	v_addc_co_u32_e32 v1, vcc, v5, v3, vcc
	global_load_dword v3, v[0:1], off
	s_waitcnt vmcnt(2)
	v_mul_f32_e32 v2, s2, v7
	s_mov_b64 s[0:1], 0
	s_waitcnt vmcnt(1)
	v_mul_f32_e32 v4, v2, v4
.LBB4_5:                                ; =>This Inner Loop Header: Depth=1
	s_waitcnt vmcnt(0)
	v_add_f32_e32 v2, v3, v4
	global_atomic_cmpswap v2, v[0:1], v[2:3], off glc
	s_waitcnt vmcnt(0)
	v_cmp_eq_u32_e32 vcc, v2, v3
	s_or_b64 s[0:1], vcc, s[0:1]
	v_mov_b32_e32 v3, v2
	s_andn2_b64 exec, exec, s[0:1]
	s_cbranch_execnz .LBB4_5
.LBB4_6:
	s_endpgm
	.section	.rodata,"a",@progbits
	.p2align	6, 0x0
	.amdhsa_kernel _ZN9rocsparseL13coomvt_kernelILj1024EiffffEEv20rocsparse_operation_lNS_24const_host_device_scalarIT4_EEPKT0_S7_PKT1_PKT2_PT3_21rocsparse_index_base_b
		.amdhsa_group_segment_fixed_size 0
		.amdhsa_private_segment_fixed_size 0
		.amdhsa_kernarg_size 328
		.amdhsa_user_sgpr_count 6
		.amdhsa_user_sgpr_private_segment_buffer 1
		.amdhsa_user_sgpr_dispatch_ptr 0
		.amdhsa_user_sgpr_queue_ptr 0
		.amdhsa_user_sgpr_kernarg_segment_ptr 1
		.amdhsa_user_sgpr_dispatch_id 0
		.amdhsa_user_sgpr_flat_scratch_init 0
		.amdhsa_user_sgpr_private_segment_size 0
		.amdhsa_uses_dynamic_stack 0
		.amdhsa_system_sgpr_private_segment_wavefront_offset 0
		.amdhsa_system_sgpr_workgroup_id_x 1
		.amdhsa_system_sgpr_workgroup_id_y 0
		.amdhsa_system_sgpr_workgroup_id_z 0
		.amdhsa_system_sgpr_workgroup_info 0
		.amdhsa_system_vgpr_workitem_id 0
		.amdhsa_next_free_vgpr 8
		.amdhsa_next_free_sgpr 18
		.amdhsa_reserve_vcc 1
		.amdhsa_reserve_flat_scratch 0
		.amdhsa_float_round_mode_32 0
		.amdhsa_float_round_mode_16_64 0
		.amdhsa_float_denorm_mode_32 3
		.amdhsa_float_denorm_mode_16_64 3
		.amdhsa_dx10_clamp 1
		.amdhsa_ieee_mode 1
		.amdhsa_fp16_overflow 0
		.amdhsa_exception_fp_ieee_invalid_op 0
		.amdhsa_exception_fp_denorm_src 0
		.amdhsa_exception_fp_ieee_div_zero 0
		.amdhsa_exception_fp_ieee_overflow 0
		.amdhsa_exception_fp_ieee_underflow 0
		.amdhsa_exception_fp_ieee_inexact 0
		.amdhsa_exception_int_div_zero 0
	.end_amdhsa_kernel
	.section	.text._ZN9rocsparseL13coomvt_kernelILj1024EiffffEEv20rocsparse_operation_lNS_24const_host_device_scalarIT4_EEPKT0_S7_PKT1_PKT2_PT3_21rocsparse_index_base_b,"axG",@progbits,_ZN9rocsparseL13coomvt_kernelILj1024EiffffEEv20rocsparse_operation_lNS_24const_host_device_scalarIT4_EEPKT0_S7_PKT1_PKT2_PT3_21rocsparse_index_base_b,comdat
.Lfunc_end4:
	.size	_ZN9rocsparseL13coomvt_kernelILj1024EiffffEEv20rocsparse_operation_lNS_24const_host_device_scalarIT4_EEPKT0_S7_PKT1_PKT2_PT3_21rocsparse_index_base_b, .Lfunc_end4-_ZN9rocsparseL13coomvt_kernelILj1024EiffffEEv20rocsparse_operation_lNS_24const_host_device_scalarIT4_EEPKT0_S7_PKT1_PKT2_PT3_21rocsparse_index_base_b
                                        ; -- End function
	.set _ZN9rocsparseL13coomvt_kernelILj1024EiffffEEv20rocsparse_operation_lNS_24const_host_device_scalarIT4_EEPKT0_S7_PKT1_PKT2_PT3_21rocsparse_index_base_b.num_vgpr, 8
	.set _ZN9rocsparseL13coomvt_kernelILj1024EiffffEEv20rocsparse_operation_lNS_24const_host_device_scalarIT4_EEPKT0_S7_PKT1_PKT2_PT3_21rocsparse_index_base_b.num_agpr, 0
	.set _ZN9rocsparseL13coomvt_kernelILj1024EiffffEEv20rocsparse_operation_lNS_24const_host_device_scalarIT4_EEPKT0_S7_PKT1_PKT2_PT3_21rocsparse_index_base_b.numbered_sgpr, 18
	.set _ZN9rocsparseL13coomvt_kernelILj1024EiffffEEv20rocsparse_operation_lNS_24const_host_device_scalarIT4_EEPKT0_S7_PKT1_PKT2_PT3_21rocsparse_index_base_b.num_named_barrier, 0
	.set _ZN9rocsparseL13coomvt_kernelILj1024EiffffEEv20rocsparse_operation_lNS_24const_host_device_scalarIT4_EEPKT0_S7_PKT1_PKT2_PT3_21rocsparse_index_base_b.private_seg_size, 0
	.set _ZN9rocsparseL13coomvt_kernelILj1024EiffffEEv20rocsparse_operation_lNS_24const_host_device_scalarIT4_EEPKT0_S7_PKT1_PKT2_PT3_21rocsparse_index_base_b.uses_vcc, 1
	.set _ZN9rocsparseL13coomvt_kernelILj1024EiffffEEv20rocsparse_operation_lNS_24const_host_device_scalarIT4_EEPKT0_S7_PKT1_PKT2_PT3_21rocsparse_index_base_b.uses_flat_scratch, 0
	.set _ZN9rocsparseL13coomvt_kernelILj1024EiffffEEv20rocsparse_operation_lNS_24const_host_device_scalarIT4_EEPKT0_S7_PKT1_PKT2_PT3_21rocsparse_index_base_b.has_dyn_sized_stack, 0
	.set _ZN9rocsparseL13coomvt_kernelILj1024EiffffEEv20rocsparse_operation_lNS_24const_host_device_scalarIT4_EEPKT0_S7_PKT1_PKT2_PT3_21rocsparse_index_base_b.has_recursion, 0
	.set _ZN9rocsparseL13coomvt_kernelILj1024EiffffEEv20rocsparse_operation_lNS_24const_host_device_scalarIT4_EEPKT0_S7_PKT1_PKT2_PT3_21rocsparse_index_base_b.has_indirect_call, 0
	.section	.AMDGPU.csdata,"",@progbits
; Kernel info:
; codeLenInByte = 340
; TotalNumSgprs: 22
; NumVgprs: 8
; ScratchSize: 0
; MemoryBound: 0
; FloatMode: 240
; IeeeMode: 1
; LDSByteSize: 0 bytes/workgroup (compile time only)
; SGPRBlocks: 2
; VGPRBlocks: 1
; NumSGPRsForWavesPerEU: 22
; NumVGPRsForWavesPerEU: 8
; Occupancy: 10
; WaveLimiterHint : 1
; COMPUTE_PGM_RSRC2:SCRATCH_EN: 0
; COMPUTE_PGM_RSRC2:USER_SGPR: 6
; COMPUTE_PGM_RSRC2:TRAP_HANDLER: 0
; COMPUTE_PGM_RSRC2:TGID_X_EN: 1
; COMPUTE_PGM_RSRC2:TGID_Y_EN: 0
; COMPUTE_PGM_RSRC2:TGID_Z_EN: 0
; COMPUTE_PGM_RSRC2:TIDIG_COMP_CNT: 0
	.section	.text._ZN9rocsparseL19coomvn_atomic_loopsILj256ELj1EiffffEEvlNS_24const_host_device_scalarIT5_EEPKT1_S6_PKT2_PKT3_PT4_21rocsparse_index_base_b,"axG",@progbits,_ZN9rocsparseL19coomvn_atomic_loopsILj256ELj1EiffffEEvlNS_24const_host_device_scalarIT5_EEPKT1_S6_PKT2_PKT3_PT4_21rocsparse_index_base_b,comdat
	.globl	_ZN9rocsparseL19coomvn_atomic_loopsILj256ELj1EiffffEEvlNS_24const_host_device_scalarIT5_EEPKT1_S6_PKT2_PKT3_PT4_21rocsparse_index_base_b ; -- Begin function _ZN9rocsparseL19coomvn_atomic_loopsILj256ELj1EiffffEEvlNS_24const_host_device_scalarIT5_EEPKT1_S6_PKT2_PKT3_PT4_21rocsparse_index_base_b
	.p2align	8
	.type	_ZN9rocsparseL19coomvn_atomic_loopsILj256ELj1EiffffEEvlNS_24const_host_device_scalarIT5_EEPKT1_S6_PKT2_PKT3_PT4_21rocsparse_index_base_b,@function
_ZN9rocsparseL19coomvn_atomic_loopsILj256ELj1EiffffEEvlNS_24const_host_device_scalarIT5_EEPKT1_S6_PKT2_PKT3_PT4_21rocsparse_index_base_b: ; @_ZN9rocsparseL19coomvn_atomic_loopsILj256ELj1EiffffEEvlNS_24const_host_device_scalarIT5_EEPKT1_S6_PKT2_PKT3_PT4_21rocsparse_index_base_b
; %bb.0:
	s_load_dwordx2 s[16:17], s[4:5], 0x38
	s_load_dwordx4 s[0:3], s[4:5], 0x0
	s_waitcnt lgkmcnt(0)
	s_bitcmp1_b32 s17, 0
	s_cselect_b64 s[8:9], -1, 0
	s_and_b64 vcc, exec, s[8:9]
	s_cbranch_vccnz .LBB5_2
; %bb.1:
	s_load_dword s2, s[2:3], 0x0
.LBB5_2:
	s_waitcnt lgkmcnt(0)
	v_cmp_eq_f32_e64 s[8:9], s2, 0
	s_and_b64 vcc, exec, s[8:9]
	s_cbranch_vccnz .LBB5_44
; %bb.3:
	v_lshl_or_b32 v1, s6, 8, v0
	v_mov_b32_e32 v2, 0
	v_cmp_gt_i64_e32 vcc, s[0:1], v[1:2]
	v_mov_b32_e32 v3, -1
	s_and_saveexec_b64 s[0:1], vcc
	s_cbranch_execz .LBB5_5
; %bb.4:
	s_load_dwordx8 s[8:15], s[4:5], 0x10
	v_lshlrev_b64 v[1:2], 2, v[1:2]
	s_waitcnt lgkmcnt(0)
	v_mov_b32_e32 v4, s11
	v_add_co_u32_e32 v3, vcc, s10, v1
	v_addc_co_u32_e32 v4, vcc, v4, v2, vcc
	global_load_dword v5, v[3:4], off glc slc
	v_mov_b32_e32 v4, s9
	v_add_co_u32_e32 v3, vcc, s8, v1
	v_addc_co_u32_e32 v4, vcc, v4, v2, vcc
	v_mov_b32_e32 v6, s13
	v_add_co_u32_e32 v1, vcc, s12, v1
	v_addc_co_u32_e32 v2, vcc, v6, v2, vcc
	global_load_dword v6, v[3:4], off glc slc
	global_load_dword v8, v[1:2], off glc slc
	v_mov_b32_e32 v7, s15
	s_waitcnt vmcnt(2)
	v_subrev_u32_e32 v1, s16, v5
	v_ashrrev_i32_e32 v2, 31, v1
	v_lshlrev_b64 v[1:2], 2, v[1:2]
	v_add_co_u32_e32 v1, vcc, s14, v1
	v_addc_co_u32_e32 v2, vcc, v7, v2, vcc
	global_load_dword v1, v[1:2], off
	s_waitcnt vmcnt(2)
	v_subrev_u32_e32 v3, s16, v6
	s_waitcnt vmcnt(0)
	v_mul_f32_e32 v2, v8, v1
.LBB5_5:
	s_or_b64 exec, exec, s[0:1]
	v_lshlrev_b32_e32 v1, 2, v0
	v_or_b32_e32 v4, 0x400, v1
	v_cmp_ne_u32_e32 vcc, 0, v0
	ds_write2st64_b32 v1, v3, v2 offset1:4
	s_waitcnt lgkmcnt(0)
	s_barrier
	s_and_saveexec_b64 s[0:1], vcc
	s_cbranch_execz .LBB5_9
; %bb.6:
	v_add_u32_e32 v5, -4, v1
	ds_read_b32 v5, v5
	s_waitcnt lgkmcnt(0)
	v_cmp_eq_u32_e32 vcc, v3, v5
	s_and_saveexec_b64 s[6:7], vcc
	s_cbranch_execz .LBB5_8
; %bb.7:
	v_add_u32_e32 v5, -4, v4
	ds_read_b32 v5, v5
	s_waitcnt lgkmcnt(0)
	v_add_f32_e32 v2, v2, v5
.LBB5_8:
	s_or_b64 exec, exec, s[6:7]
.LBB5_9:
	s_or_b64 exec, exec, s[0:1]
	v_cmp_lt_u32_e32 vcc, 1, v0
	s_barrier
	ds_write_b32 v4, v2
	s_waitcnt lgkmcnt(0)
	s_barrier
	s_and_saveexec_b64 s[0:1], vcc
	s_cbranch_execz .LBB5_13
; %bb.10:
	v_add_u32_e32 v5, -8, v1
	ds_read_b32 v5, v5
	s_waitcnt lgkmcnt(0)
	v_cmp_eq_u32_e32 vcc, v3, v5
	s_and_saveexec_b64 s[6:7], vcc
	s_cbranch_execz .LBB5_12
; %bb.11:
	v_add_u32_e32 v5, -8, v4
	ds_read_b32 v5, v5
	s_waitcnt lgkmcnt(0)
	v_add_f32_e32 v2, v2, v5
.LBB5_12:
	s_or_b64 exec, exec, s[6:7]
.LBB5_13:
	s_or_b64 exec, exec, s[0:1]
	v_cmp_lt_u32_e32 vcc, 3, v0
	s_barrier
	ds_write_b32 v4, v2
	;; [unrolled: 23-line block ×3, first 2 shown]
	s_waitcnt lgkmcnt(0)
	s_barrier
	s_and_saveexec_b64 s[0:1], vcc
	s_cbranch_execz .LBB5_21
; %bb.18:
	v_subrev_u32_e32 v5, 32, v1
	ds_read_b32 v5, v5
	s_waitcnt lgkmcnt(0)
	v_cmp_eq_u32_e32 vcc, v3, v5
	s_and_saveexec_b64 s[6:7], vcc
	s_cbranch_execz .LBB5_20
; %bb.19:
	v_subrev_u32_e32 v5, 32, v4
	ds_read_b32 v5, v5
	s_waitcnt lgkmcnt(0)
	v_add_f32_e32 v2, v2, v5
.LBB5_20:
	s_or_b64 exec, exec, s[6:7]
.LBB5_21:
	s_or_b64 exec, exec, s[0:1]
	v_cmp_lt_u32_e32 vcc, 15, v0
	s_barrier
	ds_write_b32 v4, v2
	s_waitcnt lgkmcnt(0)
	s_barrier
	s_and_saveexec_b64 s[0:1], vcc
	s_cbranch_execz .LBB5_25
; %bb.22:
	v_subrev_u32_e32 v5, 64, v1
	ds_read_b32 v5, v5
	s_waitcnt lgkmcnt(0)
	v_cmp_eq_u32_e32 vcc, v3, v5
	s_and_saveexec_b64 s[6:7], vcc
	s_cbranch_execz .LBB5_24
; %bb.23:
	v_subrev_u32_e32 v5, 64, v4
	ds_read_b32 v5, v5
	s_waitcnt lgkmcnt(0)
	v_add_f32_e32 v2, v2, v5
.LBB5_24:
	s_or_b64 exec, exec, s[6:7]
.LBB5_25:
	s_or_b64 exec, exec, s[0:1]
	v_cmp_lt_u32_e32 vcc, 31, v0
	s_barrier
	ds_write_b32 v4, v2
	s_waitcnt lgkmcnt(0)
	s_barrier
	s_and_saveexec_b64 s[0:1], vcc
	s_cbranch_execz .LBB5_29
; %bb.26:
	v_add_u32_e32 v5, 0xffffff80, v1
	ds_read_b32 v5, v5
	s_waitcnt lgkmcnt(0)
	v_cmp_eq_u32_e32 vcc, v3, v5
	s_and_saveexec_b64 s[6:7], vcc
	s_cbranch_execz .LBB5_28
; %bb.27:
	v_add_u32_e32 v5, 0xffffff80, v4
	ds_read_b32 v5, v5
	s_waitcnt lgkmcnt(0)
	v_add_f32_e32 v2, v2, v5
.LBB5_28:
	s_or_b64 exec, exec, s[6:7]
.LBB5_29:
	s_or_b64 exec, exec, s[0:1]
	v_cmp_lt_u32_e32 vcc, 63, v0
	s_barrier
	ds_write_b32 v4, v2
	s_waitcnt lgkmcnt(0)
	s_barrier
	s_and_saveexec_b64 s[0:1], vcc
	s_cbranch_execz .LBB5_33
; %bb.30:
	v_add_u32_e32 v5, 0xffffff00, v1
	ds_read_b32 v5, v5
	s_waitcnt lgkmcnt(0)
	v_cmp_eq_u32_e32 vcc, v3, v5
	s_and_saveexec_b64 s[6:7], vcc
	s_cbranch_execz .LBB5_32
; %bb.31:
	v_add_u32_e32 v5, 0xffffff00, v4
	ds_read_b32 v5, v5
	s_waitcnt lgkmcnt(0)
	v_add_f32_e32 v2, v2, v5
.LBB5_32:
	s_or_b64 exec, exec, s[6:7]
.LBB5_33:
	s_or_b64 exec, exec, s[0:1]
	s_load_dwordx2 s[4:5], s[4:5], 0x30
	s_movk_i32 s0, 0x7f
	v_cmp_lt_u32_e32 vcc, s0, v0
	s_waitcnt lgkmcnt(0)
	s_barrier
	ds_write_b32 v4, v2
	s_waitcnt lgkmcnt(0)
	s_barrier
	s_and_saveexec_b64 s[0:1], vcc
	s_cbranch_execz .LBB5_37
; %bb.34:
	v_add_u32_e32 v5, 0xfffffe00, v1
	ds_read_b32 v5, v5
	s_waitcnt lgkmcnt(0)
	v_cmp_eq_u32_e32 vcc, v3, v5
	s_and_saveexec_b64 s[6:7], vcc
	s_cbranch_execz .LBB5_36
; %bb.35:
	v_add_u32_e32 v5, 0xfffffe00, v4
	ds_read_b32 v5, v5
	s_waitcnt lgkmcnt(0)
	v_add_f32_e32 v2, v2, v5
.LBB5_36:
	s_or_b64 exec, exec, s[6:7]
.LBB5_37:
	s_or_b64 exec, exec, s[0:1]
	s_movk_i32 s3, 0xff
	v_cmp_gt_u32_e32 vcc, s3, v0
	s_barrier
	ds_write_b32 v4, v2
	s_waitcnt lgkmcnt(0)
	s_barrier
	s_and_saveexec_b64 s[6:7], vcc
	s_cbranch_execz .LBB5_41
; %bb.38:
	ds_read_b32 v1, v1 offset:4
	v_cmp_lt_i32_e64 s[0:1], -1, v3
	s_waitcnt lgkmcnt(0)
	v_cmp_ne_u32_e32 vcc, v3, v1
	s_and_b64 s[0:1], s[0:1], vcc
	s_and_b64 exec, exec, s[0:1]
	s_cbranch_execz .LBB5_41
; %bb.39:
	v_mov_b32_e32 v4, 0
	v_lshlrev_b64 v[4:5], 2, v[3:4]
	v_mov_b32_e32 v1, s5
	v_add_co_u32_e32 v4, vcc, s4, v4
	v_addc_co_u32_e32 v5, vcc, v1, v5, vcc
	global_load_dword v7, v[4:5], off
	v_mul_f32_e32 v1, s2, v2
	s_mov_b64 s[0:1], 0
.LBB5_40:                               ; =>This Inner Loop Header: Depth=1
	s_waitcnt vmcnt(0)
	v_add_f32_e32 v6, v7, v1
	global_atomic_cmpswap v6, v[4:5], v[6:7], off glc
	s_waitcnt vmcnt(0)
	v_cmp_eq_u32_e32 vcc, v6, v7
	s_or_b64 s[0:1], vcc, s[0:1]
	v_mov_b32_e32 v7, v6
	s_andn2_b64 exec, exec, s[0:1]
	s_cbranch_execnz .LBB5_40
.LBB5_41:
	s_or_b64 exec, exec, s[6:7]
	v_cmp_eq_u32_e32 vcc, s3, v0
	v_cmp_lt_i32_e64 s[0:1], -1, v3
	s_and_b64 s[0:1], vcc, s[0:1]
	s_and_saveexec_b64 s[6:7], s[0:1]
	s_cbranch_execz .LBB5_44
; %bb.42:
	v_mov_b32_e32 v4, 0
	v_lshlrev_b64 v[0:1], 2, v[3:4]
	v_mov_b32_e32 v3, s5
	v_add_co_u32_e32 v0, vcc, s4, v0
	v_addc_co_u32_e32 v1, vcc, v3, v1, vcc
	global_load_dword v3, v[0:1], off
	v_mul_f32_e32 v4, s2, v2
	s_mov_b64 s[0:1], 0
.LBB5_43:                               ; =>This Inner Loop Header: Depth=1
	s_waitcnt vmcnt(0)
	v_add_f32_e32 v2, v3, v4
	global_atomic_cmpswap v2, v[0:1], v[2:3], off glc
	s_waitcnt vmcnt(0)
	v_cmp_eq_u32_e32 vcc, v2, v3
	s_or_b64 s[0:1], vcc, s[0:1]
	v_mov_b32_e32 v3, v2
	s_andn2_b64 exec, exec, s[0:1]
	s_cbranch_execnz .LBB5_43
.LBB5_44:
	s_endpgm
	.section	.rodata,"a",@progbits
	.p2align	6, 0x0
	.amdhsa_kernel _ZN9rocsparseL19coomvn_atomic_loopsILj256ELj1EiffffEEvlNS_24const_host_device_scalarIT5_EEPKT1_S6_PKT2_PKT3_PT4_21rocsparse_index_base_b
		.amdhsa_group_segment_fixed_size 2048
		.amdhsa_private_segment_fixed_size 0
		.amdhsa_kernarg_size 64
		.amdhsa_user_sgpr_count 6
		.amdhsa_user_sgpr_private_segment_buffer 1
		.amdhsa_user_sgpr_dispatch_ptr 0
		.amdhsa_user_sgpr_queue_ptr 0
		.amdhsa_user_sgpr_kernarg_segment_ptr 1
		.amdhsa_user_sgpr_dispatch_id 0
		.amdhsa_user_sgpr_flat_scratch_init 0
		.amdhsa_user_sgpr_private_segment_size 0
		.amdhsa_uses_dynamic_stack 0
		.amdhsa_system_sgpr_private_segment_wavefront_offset 0
		.amdhsa_system_sgpr_workgroup_id_x 1
		.amdhsa_system_sgpr_workgroup_id_y 0
		.amdhsa_system_sgpr_workgroup_id_z 0
		.amdhsa_system_sgpr_workgroup_info 0
		.amdhsa_system_vgpr_workitem_id 0
		.amdhsa_next_free_vgpr 9
		.amdhsa_next_free_sgpr 18
		.amdhsa_reserve_vcc 1
		.amdhsa_reserve_flat_scratch 0
		.amdhsa_float_round_mode_32 0
		.amdhsa_float_round_mode_16_64 0
		.amdhsa_float_denorm_mode_32 3
		.amdhsa_float_denorm_mode_16_64 3
		.amdhsa_dx10_clamp 1
		.amdhsa_ieee_mode 1
		.amdhsa_fp16_overflow 0
		.amdhsa_exception_fp_ieee_invalid_op 0
		.amdhsa_exception_fp_denorm_src 0
		.amdhsa_exception_fp_ieee_div_zero 0
		.amdhsa_exception_fp_ieee_overflow 0
		.amdhsa_exception_fp_ieee_underflow 0
		.amdhsa_exception_fp_ieee_inexact 0
		.amdhsa_exception_int_div_zero 0
	.end_amdhsa_kernel
	.section	.text._ZN9rocsparseL19coomvn_atomic_loopsILj256ELj1EiffffEEvlNS_24const_host_device_scalarIT5_EEPKT1_S6_PKT2_PKT3_PT4_21rocsparse_index_base_b,"axG",@progbits,_ZN9rocsparseL19coomvn_atomic_loopsILj256ELj1EiffffEEvlNS_24const_host_device_scalarIT5_EEPKT1_S6_PKT2_PKT3_PT4_21rocsparse_index_base_b,comdat
.Lfunc_end5:
	.size	_ZN9rocsparseL19coomvn_atomic_loopsILj256ELj1EiffffEEvlNS_24const_host_device_scalarIT5_EEPKT1_S6_PKT2_PKT3_PT4_21rocsparse_index_base_b, .Lfunc_end5-_ZN9rocsparseL19coomvn_atomic_loopsILj256ELj1EiffffEEvlNS_24const_host_device_scalarIT5_EEPKT1_S6_PKT2_PKT3_PT4_21rocsparse_index_base_b
                                        ; -- End function
	.set _ZN9rocsparseL19coomvn_atomic_loopsILj256ELj1EiffffEEvlNS_24const_host_device_scalarIT5_EEPKT1_S6_PKT2_PKT3_PT4_21rocsparse_index_base_b.num_vgpr, 9
	.set _ZN9rocsparseL19coomvn_atomic_loopsILj256ELj1EiffffEEvlNS_24const_host_device_scalarIT5_EEPKT1_S6_PKT2_PKT3_PT4_21rocsparse_index_base_b.num_agpr, 0
	.set _ZN9rocsparseL19coomvn_atomic_loopsILj256ELj1EiffffEEvlNS_24const_host_device_scalarIT5_EEPKT1_S6_PKT2_PKT3_PT4_21rocsparse_index_base_b.numbered_sgpr, 18
	.set _ZN9rocsparseL19coomvn_atomic_loopsILj256ELj1EiffffEEvlNS_24const_host_device_scalarIT5_EEPKT1_S6_PKT2_PKT3_PT4_21rocsparse_index_base_b.num_named_barrier, 0
	.set _ZN9rocsparseL19coomvn_atomic_loopsILj256ELj1EiffffEEvlNS_24const_host_device_scalarIT5_EEPKT1_S6_PKT2_PKT3_PT4_21rocsparse_index_base_b.private_seg_size, 0
	.set _ZN9rocsparseL19coomvn_atomic_loopsILj256ELj1EiffffEEvlNS_24const_host_device_scalarIT5_EEPKT1_S6_PKT2_PKT3_PT4_21rocsparse_index_base_b.uses_vcc, 1
	.set _ZN9rocsparseL19coomvn_atomic_loopsILj256ELj1EiffffEEvlNS_24const_host_device_scalarIT5_EEPKT1_S6_PKT2_PKT3_PT4_21rocsparse_index_base_b.uses_flat_scratch, 0
	.set _ZN9rocsparseL19coomvn_atomic_loopsILj256ELj1EiffffEEvlNS_24const_host_device_scalarIT5_EEPKT1_S6_PKT2_PKT3_PT4_21rocsparse_index_base_b.has_dyn_sized_stack, 0
	.set _ZN9rocsparseL19coomvn_atomic_loopsILj256ELj1EiffffEEvlNS_24const_host_device_scalarIT5_EEPKT1_S6_PKT2_PKT3_PT4_21rocsparse_index_base_b.has_recursion, 0
	.set _ZN9rocsparseL19coomvn_atomic_loopsILj256ELj1EiffffEEvlNS_24const_host_device_scalarIT5_EEPKT1_S6_PKT2_PKT3_PT4_21rocsparse_index_base_b.has_indirect_call, 0
	.section	.AMDGPU.csdata,"",@progbits
; Kernel info:
; codeLenInByte = 1248
; TotalNumSgprs: 22
; NumVgprs: 9
; ScratchSize: 0
; MemoryBound: 0
; FloatMode: 240
; IeeeMode: 1
; LDSByteSize: 2048 bytes/workgroup (compile time only)
; SGPRBlocks: 2
; VGPRBlocks: 2
; NumSGPRsForWavesPerEU: 22
; NumVGPRsForWavesPerEU: 9
; Occupancy: 10
; WaveLimiterHint : 1
; COMPUTE_PGM_RSRC2:SCRATCH_EN: 0
; COMPUTE_PGM_RSRC2:USER_SGPR: 6
; COMPUTE_PGM_RSRC2:TRAP_HANDLER: 0
; COMPUTE_PGM_RSRC2:TGID_X_EN: 1
; COMPUTE_PGM_RSRC2:TGID_Y_EN: 0
; COMPUTE_PGM_RSRC2:TGID_Z_EN: 0
; COMPUTE_PGM_RSRC2:TIDIG_COMP_CNT: 0
	.section	.text._ZN9rocsparseL19coomvn_atomic_loopsILj256ELj2EiffffEEvlNS_24const_host_device_scalarIT5_EEPKT1_S6_PKT2_PKT3_PT4_21rocsparse_index_base_b,"axG",@progbits,_ZN9rocsparseL19coomvn_atomic_loopsILj256ELj2EiffffEEvlNS_24const_host_device_scalarIT5_EEPKT1_S6_PKT2_PKT3_PT4_21rocsparse_index_base_b,comdat
	.globl	_ZN9rocsparseL19coomvn_atomic_loopsILj256ELj2EiffffEEvlNS_24const_host_device_scalarIT5_EEPKT1_S6_PKT2_PKT3_PT4_21rocsparse_index_base_b ; -- Begin function _ZN9rocsparseL19coomvn_atomic_loopsILj256ELj2EiffffEEvlNS_24const_host_device_scalarIT5_EEPKT1_S6_PKT2_PKT3_PT4_21rocsparse_index_base_b
	.p2align	8
	.type	_ZN9rocsparseL19coomvn_atomic_loopsILj256ELj2EiffffEEvlNS_24const_host_device_scalarIT5_EEPKT1_S6_PKT2_PKT3_PT4_21rocsparse_index_base_b,@function
_ZN9rocsparseL19coomvn_atomic_loopsILj256ELj2EiffffEEvlNS_24const_host_device_scalarIT5_EEPKT1_S6_PKT2_PKT3_PT4_21rocsparse_index_base_b: ; @_ZN9rocsparseL19coomvn_atomic_loopsILj256ELj2EiffffEEvlNS_24const_host_device_scalarIT5_EEPKT1_S6_PKT2_PKT3_PT4_21rocsparse_index_base_b
; %bb.0:
	s_load_dwordx2 s[34:35], s[4:5], 0x38
	s_load_dwordx4 s[36:39], s[4:5], 0x0
	s_waitcnt lgkmcnt(0)
	s_bitcmp1_b32 s35, 0
	s_cselect_b64 s[0:1], -1, 0
	s_and_b64 vcc, exec, s[0:1]
	s_cbranch_vccnz .LBB6_2
; %bb.1:
	s_load_dword s38, s[38:39], 0x0
.LBB6_2:
	s_waitcnt lgkmcnt(0)
	v_cmp_eq_f32_e64 s[0:1], s38, 0
	s_and_b64 vcc, exec, s[0:1]
	s_cbranch_vccnz .LBB6_92
; %bb.3:
	s_load_dwordx8 s[24:31], s[4:5], 0x10
	v_lshl_or_b32 v3, s6, 9, v0
	v_mov_b32_e32 v4, 0
	v_cmp_gt_i64_e32 vcc, s[36:37], v[3:4]
	v_lshlrev_b64 v[1:2], 2, v[3:4]
	v_mov_b32_e32 v5, -1
	s_and_saveexec_b64 s[0:1], vcc
	s_cbranch_execz .LBB6_5
; %bb.4:
	s_waitcnt lgkmcnt(0)
	v_mov_b32_e32 v5, s27
	v_add_co_u32_e32 v4, vcc, s26, v1
	v_addc_co_u32_e32 v5, vcc, v5, v2, vcc
	global_load_dword v8, v[4:5], off glc slc
	v_mov_b32_e32 v5, s25
	v_add_co_u32_e32 v4, vcc, s24, v1
	v_addc_co_u32_e32 v5, vcc, v5, v2, vcc
	v_mov_b32_e32 v7, s29
	v_add_co_u32_e32 v6, vcc, s28, v1
	v_addc_co_u32_e32 v7, vcc, v7, v2, vcc
	global_load_dword v10, v[4:5], off glc slc
	global_load_dword v11, v[6:7], off glc slc
	v_mov_b32_e32 v9, s31
	s_waitcnt vmcnt(2)
	v_subrev_u32_e32 v4, s34, v8
	v_ashrrev_i32_e32 v5, 31, v4
	v_lshlrev_b64 v[4:5], 2, v[4:5]
	v_add_co_u32_e32 v4, vcc, s30, v4
	v_addc_co_u32_e32 v5, vcc, v9, v5, vcc
	global_load_dword v4, v[4:5], off
	s_waitcnt vmcnt(2)
	v_subrev_u32_e32 v5, s34, v10
	s_waitcnt vmcnt(0)
	v_mul_f32_e32 v4, v11, v4
.LBB6_5:
	s_or_b64 exec, exec, s[0:1]
	v_lshlrev_b32_e32 v9, 2, v0
	v_or_b32_e32 v10, 0x400, v9
	v_cmp_eq_u32_e64 s[18:19], 0, v0
	v_cmp_ne_u32_e64 s[0:1], 0, v0
	v_add_u32_e32 v11, -4, v9
	ds_write2st64_b32 v9, v5, v4 offset1:4
	s_waitcnt lgkmcnt(0)
	s_barrier
	s_and_saveexec_b64 s[2:3], s[0:1]
	s_cbranch_execz .LBB6_9
; %bb.6:
	ds_read_b32 v6, v11
	s_waitcnt lgkmcnt(0)
	v_cmp_eq_u32_e32 vcc, v5, v6
	s_and_saveexec_b64 s[6:7], vcc
	s_cbranch_execz .LBB6_8
; %bb.7:
	v_add_u32_e32 v6, -4, v10
	ds_read_b32 v6, v6
	s_waitcnt lgkmcnt(0)
	v_add_f32_e32 v4, v4, v6
.LBB6_8:
	s_or_b64 exec, exec, s[6:7]
.LBB6_9:
	s_or_b64 exec, exec, s[2:3]
	v_cmp_lt_u32_e64 s[2:3], 1, v0
	v_add_u32_e32 v12, -8, v9
	s_barrier
	ds_write_b32 v10, v4
	s_waitcnt lgkmcnt(0)
	s_barrier
	s_and_saveexec_b64 s[6:7], s[2:3]
	s_cbranch_execz .LBB6_13
; %bb.10:
	ds_read_b32 v6, v12
	s_waitcnt lgkmcnt(0)
	v_cmp_eq_u32_e32 vcc, v5, v6
	s_and_saveexec_b64 s[8:9], vcc
	s_cbranch_execz .LBB6_12
; %bb.11:
	v_add_u32_e32 v6, -8, v10
	ds_read_b32 v6, v6
	s_waitcnt lgkmcnt(0)
	v_add_f32_e32 v4, v4, v6
.LBB6_12:
	s_or_b64 exec, exec, s[8:9]
.LBB6_13:
	s_or_b64 exec, exec, s[6:7]
	v_cmp_lt_u32_e64 s[20:21], 3, v0
	v_add_u32_e32 v13, -16, v9
	s_barrier
	ds_write_b32 v10, v4
	s_waitcnt lgkmcnt(0)
	s_barrier
	s_and_saveexec_b64 s[6:7], s[20:21]
	s_cbranch_execz .LBB6_17
; %bb.14:
	ds_read_b32 v6, v13
	s_waitcnt lgkmcnt(0)
	v_cmp_eq_u32_e32 vcc, v5, v6
	s_and_saveexec_b64 s[8:9], vcc
	s_cbranch_execz .LBB6_16
; %bb.15:
	v_add_u32_e32 v6, -16, v10
	ds_read_b32 v6, v6
	s_waitcnt lgkmcnt(0)
	v_add_f32_e32 v4, v4, v6
.LBB6_16:
	s_or_b64 exec, exec, s[8:9]
.LBB6_17:
	s_or_b64 exec, exec, s[6:7]
	v_cmp_lt_u32_e64 s[6:7], 7, v0
	v_subrev_u32_e32 v14, 32, v9
	s_barrier
	ds_write_b32 v10, v4
	s_waitcnt lgkmcnt(0)
	s_barrier
	s_and_saveexec_b64 s[8:9], s[6:7]
	s_cbranch_execz .LBB6_21
; %bb.18:
	ds_read_b32 v6, v14
	s_waitcnt lgkmcnt(0)
	v_cmp_eq_u32_e32 vcc, v5, v6
	s_and_saveexec_b64 s[10:11], vcc
	s_cbranch_execz .LBB6_20
; %bb.19:
	v_subrev_u32_e32 v6, 32, v10
	ds_read_b32 v6, v6
	s_waitcnt lgkmcnt(0)
	v_add_f32_e32 v4, v4, v6
.LBB6_20:
	s_or_b64 exec, exec, s[10:11]
.LBB6_21:
	s_or_b64 exec, exec, s[8:9]
	v_cmp_lt_u32_e64 s[8:9], 15, v0
	v_subrev_u32_e32 v15, 64, v9
	s_barrier
	ds_write_b32 v10, v4
	s_waitcnt lgkmcnt(0)
	s_barrier
	s_and_saveexec_b64 s[10:11], s[8:9]
	s_cbranch_execz .LBB6_25
; %bb.22:
	ds_read_b32 v6, v15
	s_waitcnt lgkmcnt(0)
	v_cmp_eq_u32_e32 vcc, v5, v6
	s_and_saveexec_b64 s[12:13], vcc
	s_cbranch_execz .LBB6_24
; %bb.23:
	v_subrev_u32_e32 v6, 64, v10
	ds_read_b32 v6, v6
	s_waitcnt lgkmcnt(0)
	v_add_f32_e32 v4, v4, v6
.LBB6_24:
	s_or_b64 exec, exec, s[12:13]
.LBB6_25:
	s_or_b64 exec, exec, s[10:11]
	v_cmp_lt_u32_e64 s[10:11], 31, v0
	s_barrier
	ds_write_b32 v10, v4
	s_waitcnt lgkmcnt(0)
	s_barrier
	s_and_saveexec_b64 s[12:13], s[10:11]
	s_cbranch_execz .LBB6_29
; %bb.26:
	v_add_u32_e32 v6, 0xffffff80, v9
	ds_read_b32 v6, v6
	s_waitcnt lgkmcnt(0)
	v_cmp_eq_u32_e32 vcc, v5, v6
	s_and_saveexec_b64 s[14:15], vcc
	s_cbranch_execz .LBB6_28
; %bb.27:
	v_add_u32_e32 v6, 0xffffff80, v10
	ds_read_b32 v6, v6
	s_waitcnt lgkmcnt(0)
	v_add_f32_e32 v4, v4, v6
.LBB6_28:
	s_or_b64 exec, exec, s[14:15]
.LBB6_29:
	s_or_b64 exec, exec, s[12:13]
	v_cmp_lt_u32_e64 s[12:13], 63, v0
	s_barrier
	ds_write_b32 v10, v4
	s_waitcnt lgkmcnt(0)
	s_barrier
	s_and_saveexec_b64 s[14:15], s[12:13]
	s_cbranch_execz .LBB6_33
; %bb.30:
	v_add_u32_e32 v6, 0xffffff00, v9
	ds_read_b32 v6, v6
	s_waitcnt lgkmcnt(0)
	v_cmp_eq_u32_e32 vcc, v5, v6
	s_and_saveexec_b64 s[16:17], vcc
	s_cbranch_execz .LBB6_32
; %bb.31:
	v_add_u32_e32 v6, 0xffffff00, v10
	ds_read_b32 v6, v6
	s_waitcnt lgkmcnt(0)
	v_add_f32_e32 v4, v4, v6
.LBB6_32:
	s_or_b64 exec, exec, s[16:17]
.LBB6_33:
	s_or_b64 exec, exec, s[14:15]
	s_load_dwordx2 s[22:23], s[4:5], 0x30
	s_movk_i32 s4, 0x7f
	v_cmp_lt_u32_e64 s[14:15], s4, v0
	s_waitcnt lgkmcnt(0)
	s_barrier
	ds_write_b32 v10, v4
	s_waitcnt lgkmcnt(0)
	s_barrier
	s_and_saveexec_b64 s[4:5], s[14:15]
	s_cbranch_execz .LBB6_37
; %bb.34:
	v_add_u32_e32 v6, 0xfffffe00, v9
	ds_read_b32 v6, v6
	s_waitcnt lgkmcnt(0)
	v_cmp_eq_u32_e32 vcc, v5, v6
	s_and_saveexec_b64 s[16:17], vcc
	s_cbranch_execz .LBB6_36
; %bb.35:
	v_add_u32_e32 v6, 0xfffffe00, v10
	ds_read_b32 v6, v6
	s_waitcnt lgkmcnt(0)
	v_add_f32_e32 v4, v4, v6
.LBB6_36:
	s_or_b64 exec, exec, s[16:17]
.LBB6_37:
	s_or_b64 exec, exec, s[4:5]
	s_movk_i32 s4, 0xff
	v_cmp_gt_u32_e64 s[16:17], s4, v0
	s_barrier
	ds_write_b32 v10, v4
	s_waitcnt lgkmcnt(0)
	s_barrier
	s_and_saveexec_b64 s[40:41], s[16:17]
	s_cbranch_execz .LBB6_41
; %bb.38:
	ds_read_b32 v6, v9 offset:4
	v_cmp_lt_i32_e64 s[4:5], -1, v5
	s_waitcnt lgkmcnt(0)
	v_cmp_ne_u32_e32 vcc, v5, v6
	s_and_b64 s[4:5], s[4:5], vcc
	s_and_b64 exec, exec, s[4:5]
	s_cbranch_execz .LBB6_41
; %bb.39:
	v_mov_b32_e32 v6, 0
	v_lshlrev_b64 v[5:6], 2, v[5:6]
	v_mov_b32_e32 v7, s23
	v_add_co_u32_e32 v5, vcc, s22, v5
	v_addc_co_u32_e32 v6, vcc, v7, v6, vcc
	global_load_dword v8, v[5:6], off
	v_mul_f32_e32 v4, s38, v4
	s_mov_b64 s[4:5], 0
.LBB6_40:                               ; =>This Inner Loop Header: Depth=1
	s_waitcnt vmcnt(0)
	v_add_f32_e32 v7, v8, v4
	global_atomic_cmpswap v7, v[5:6], v[7:8], off glc
	s_waitcnt vmcnt(0)
	v_cmp_eq_u32_e32 vcc, v7, v8
	s_or_b64 s[4:5], vcc, s[4:5]
	v_mov_b32_e32 v8, v7
	s_andn2_b64 exec, exec, s[4:5]
	s_cbranch_execnz .LBB6_40
.LBB6_41:
	s_or_b64 exec, exec, s[40:41]
	v_add_co_u32_e32 v3, vcc, 0x100, v3
	v_addc_co_u32_e64 v4, s[4:5], 0, 0, vcc
	v_cmp_gt_i64_e32 vcc, s[36:37], v[3:4]
	v_mov_b32_e32 v3, -1
	v_mov_b32_e32 v6, 0
	s_and_saveexec_b64 s[4:5], vcc
	s_cbranch_execz .LBB6_43
; %bb.42:
	v_mov_b32_e32 v4, s27
	v_add_co_u32_e32 v3, vcc, s26, v1
	v_addc_co_u32_e32 v4, vcc, v4, v2, vcc
	global_load_dword v5, v[3:4], off offset:1024 glc slc
	v_mov_b32_e32 v4, s25
	v_add_co_u32_e32 v3, vcc, s24, v1
	v_addc_co_u32_e32 v4, vcc, v4, v2, vcc
	v_mov_b32_e32 v6, s29
	v_add_co_u32_e32 v1, vcc, s28, v1
	v_addc_co_u32_e32 v2, vcc, v6, v2, vcc
	global_load_dword v6, v[3:4], off offset:1024 glc slc
	global_load_dword v8, v[1:2], off offset:1024 glc slc
	v_mov_b32_e32 v7, s31
	s_waitcnt vmcnt(2)
	v_subrev_u32_e32 v1, s34, v5
	v_ashrrev_i32_e32 v2, 31, v1
	v_lshlrev_b64 v[1:2], 2, v[1:2]
	v_add_co_u32_e32 v1, vcc, s30, v1
	v_addc_co_u32_e32 v2, vcc, v7, v2, vcc
	global_load_dword v1, v[1:2], off
	s_waitcnt vmcnt(2)
	v_subrev_u32_e32 v3, s34, v6
	s_waitcnt vmcnt(0)
	v_mul_f32_e32 v6, v8, v1
.LBB6_43:
	s_or_b64 exec, exec, s[4:5]
	s_and_saveexec_b64 s[4:5], s[18:19]
	s_cbranch_execz .LBB6_53
; %bb.44:
	v_mov_b32_e32 v1, 0
	ds_read_b32 v1, v1 offset:1020
	s_waitcnt lgkmcnt(0)
	v_readfirstlane_b32 s26, v1
	v_cmp_ne_u32_e32 vcc, v3, v1
	s_and_saveexec_b64 s[18:19], vcc
	s_xor_b64 s[18:19], exec, s[18:19]
	s_cbranch_execz .LBB6_50
; %bb.45:
	s_cmp_lt_i32 s26, 0
	s_cbranch_scc1 .LBB6_50
; %bb.46:
	s_mov_b64 s[28:29], exec
	v_mbcnt_lo_u32_b32 v1, s28, 0
	v_mbcnt_hi_u32_b32 v1, s29, v1
	v_cmp_eq_u32_e32 vcc, 0, v1
	s_and_saveexec_b64 s[24:25], vcc
	s_cbranch_execz .LBB6_49
; %bb.47:
	s_mov_b32 s27, 0
	s_lshl_b64 s[26:27], s[26:27], 2
	s_add_u32 s26, s22, s26
	s_addc_u32 s27, s23, s27
	v_mov_b32_e32 v4, 0
	global_load_dword v2, v4, s[26:27]
	ds_read_b32 v1, v4 offset:2044
	s_bcnt1_i32_b64 s28, s[28:29]
	v_cvt_f32_ubyte0_e32 v5, s28
	s_mov_b64 s[28:29], 0
	s_waitcnt lgkmcnt(0)
	v_mul_f32_e32 v1, s38, v1
	v_mul_f32_e32 v5, v1, v5
.LBB6_48:                               ; =>This Inner Loop Header: Depth=1
	s_waitcnt vmcnt(0)
	v_add_f32_e32 v1, v2, v5
	global_atomic_cmpswap v1, v4, v[1:2], s[26:27] glc
	s_waitcnt vmcnt(0)
	v_cmp_eq_u32_e32 vcc, v1, v2
	s_or_b64 s[28:29], vcc, s[28:29]
	v_mov_b32_e32 v2, v1
	s_andn2_b64 exec, exec, s[28:29]
	s_cbranch_execnz .LBB6_48
.LBB6_49:
	s_or_b64 exec, exec, s[24:25]
.LBB6_50:
	s_andn2_saveexec_b64 s[18:19], s[18:19]
	s_cbranch_execz .LBB6_52
; %bb.51:
	v_mov_b32_e32 v1, 0
	ds_read_b32 v1, v1 offset:2044
	s_waitcnt lgkmcnt(0)
	v_add_f32_e32 v6, v6, v1
.LBB6_52:
	s_or_b64 exec, exec, s[18:19]
.LBB6_53:
	s_or_b64 exec, exec, s[4:5]
	s_barrier
	ds_write_b32 v9, v3
	ds_write_b32 v10, v6
	s_waitcnt lgkmcnt(0)
	s_barrier
	s_and_saveexec_b64 s[4:5], s[0:1]
	s_cbranch_execz .LBB6_57
; %bb.54:
	ds_read_b32 v1, v11
	s_waitcnt lgkmcnt(0)
	v_cmp_eq_u32_e32 vcc, v3, v1
	s_and_saveexec_b64 s[0:1], vcc
	s_cbranch_execz .LBB6_56
; %bb.55:
	v_add_u32_e32 v1, -4, v10
	ds_read_b32 v1, v1
	s_waitcnt lgkmcnt(0)
	v_add_f32_e32 v6, v6, v1
.LBB6_56:
	s_or_b64 exec, exec, s[0:1]
.LBB6_57:
	s_or_b64 exec, exec, s[4:5]
	s_barrier
	ds_write_b32 v10, v6
	s_waitcnt lgkmcnt(0)
	s_barrier
	s_and_saveexec_b64 s[0:1], s[2:3]
	s_cbranch_execz .LBB6_61
; %bb.58:
	ds_read_b32 v1, v12
	s_waitcnt lgkmcnt(0)
	v_cmp_eq_u32_e32 vcc, v3, v1
	s_and_saveexec_b64 s[2:3], vcc
	s_cbranch_execz .LBB6_60
; %bb.59:
	v_add_u32_e32 v1, -8, v10
	ds_read_b32 v1, v1
	s_waitcnt lgkmcnt(0)
	v_add_f32_e32 v6, v6, v1
.LBB6_60:
	s_or_b64 exec, exec, s[2:3]
.LBB6_61:
	s_or_b64 exec, exec, s[0:1]
	s_barrier
	;; [unrolled: 21-line block ×3, first 2 shown]
	ds_write_b32 v10, v6
	s_waitcnt lgkmcnt(0)
	s_barrier
	s_and_saveexec_b64 s[0:1], s[6:7]
	s_cbranch_execz .LBB6_69
; %bb.66:
	ds_read_b32 v1, v14
	s_waitcnt lgkmcnt(0)
	v_cmp_eq_u32_e32 vcc, v3, v1
	s_and_saveexec_b64 s[2:3], vcc
	s_cbranch_execz .LBB6_68
; %bb.67:
	v_subrev_u32_e32 v1, 32, v10
	ds_read_b32 v1, v1
	s_waitcnt lgkmcnt(0)
	v_add_f32_e32 v6, v6, v1
.LBB6_68:
	s_or_b64 exec, exec, s[2:3]
.LBB6_69:
	s_or_b64 exec, exec, s[0:1]
	s_barrier
	ds_write_b32 v10, v6
	s_waitcnt lgkmcnt(0)
	s_barrier
	s_and_saveexec_b64 s[0:1], s[8:9]
	s_cbranch_execz .LBB6_73
; %bb.70:
	ds_read_b32 v1, v15
	s_waitcnt lgkmcnt(0)
	v_cmp_eq_u32_e32 vcc, v3, v1
	s_and_saveexec_b64 s[2:3], vcc
	s_cbranch_execz .LBB6_72
; %bb.71:
	v_subrev_u32_e32 v1, 64, v10
	ds_read_b32 v1, v1
	s_waitcnt lgkmcnt(0)
	v_add_f32_e32 v6, v6, v1
.LBB6_72:
	s_or_b64 exec, exec, s[2:3]
.LBB6_73:
	s_or_b64 exec, exec, s[0:1]
	s_barrier
	ds_write_b32 v10, v6
	s_waitcnt lgkmcnt(0)
	s_barrier
	s_and_saveexec_b64 s[0:1], s[10:11]
	s_cbranch_execz .LBB6_77
; %bb.74:
	v_add_u32_e32 v1, 0xffffff80, v9
	ds_read_b32 v1, v1
	s_waitcnt lgkmcnt(0)
	v_cmp_eq_u32_e32 vcc, v3, v1
	s_and_saveexec_b64 s[2:3], vcc
	s_cbranch_execz .LBB6_76
; %bb.75:
	v_add_u32_e32 v1, 0xffffff80, v10
	ds_read_b32 v1, v1
	s_waitcnt lgkmcnt(0)
	v_add_f32_e32 v6, v6, v1
.LBB6_76:
	s_or_b64 exec, exec, s[2:3]
.LBB6_77:
	s_or_b64 exec, exec, s[0:1]
	s_barrier
	ds_write_b32 v10, v6
	s_waitcnt lgkmcnt(0)
	s_barrier
	s_and_saveexec_b64 s[0:1], s[12:13]
	s_cbranch_execz .LBB6_81
; %bb.78:
	v_add_u32_e32 v1, 0xffffff00, v9
	ds_read_b32 v1, v1
	s_waitcnt lgkmcnt(0)
	v_cmp_eq_u32_e32 vcc, v3, v1
	s_and_saveexec_b64 s[2:3], vcc
	s_cbranch_execz .LBB6_80
; %bb.79:
	v_add_u32_e32 v1, 0xffffff00, v10
	ds_read_b32 v1, v1
	s_waitcnt lgkmcnt(0)
	v_add_f32_e32 v6, v6, v1
.LBB6_80:
	s_or_b64 exec, exec, s[2:3]
.LBB6_81:
	;; [unrolled: 22-line block ×3, first 2 shown]
	s_or_b64 exec, exec, s[0:1]
	s_barrier
	ds_write_b32 v10, v6
	s_waitcnt lgkmcnt(0)
	s_barrier
	s_and_saveexec_b64 s[2:3], s[16:17]
	s_cbranch_execz .LBB6_89
; %bb.86:
	ds_read_b32 v1, v9 offset:4
	v_cmp_lt_i32_e64 s[0:1], -1, v3
	s_waitcnt lgkmcnt(0)
	v_cmp_ne_u32_e32 vcc, v3, v1
	s_and_b64 s[0:1], s[0:1], vcc
	s_and_b64 exec, exec, s[0:1]
	s_cbranch_execz .LBB6_89
; %bb.87:
	v_mov_b32_e32 v4, 0
	v_lshlrev_b64 v[1:2], 2, v[3:4]
	v_mov_b32_e32 v4, s23
	v_add_co_u32_e32 v1, vcc, s22, v1
	v_addc_co_u32_e32 v2, vcc, v4, v2, vcc
	global_load_dword v5, v[1:2], off
	v_mul_f32_e32 v7, s38, v6
	s_mov_b64 s[0:1], 0
.LBB6_88:                               ; =>This Inner Loop Header: Depth=1
	s_waitcnt vmcnt(0)
	v_add_f32_e32 v4, v5, v7
	global_atomic_cmpswap v4, v[1:2], v[4:5], off glc
	s_waitcnt vmcnt(0)
	v_cmp_eq_u32_e32 vcc, v4, v5
	s_or_b64 s[0:1], vcc, s[0:1]
	v_mov_b32_e32 v5, v4
	s_andn2_b64 exec, exec, s[0:1]
	s_cbranch_execnz .LBB6_88
.LBB6_89:
	s_or_b64 exec, exec, s[2:3]
	s_movk_i32 s0, 0xff
	v_cmp_eq_u32_e32 vcc, s0, v0
	v_cmp_lt_i32_e64 s[0:1], -1, v3
	s_and_b64 s[0:1], vcc, s[0:1]
	s_and_saveexec_b64 s[2:3], s[0:1]
	s_cbranch_execz .LBB6_92
; %bb.90:
	v_mov_b32_e32 v4, 0
	v_lshlrev_b64 v[0:1], 2, v[3:4]
	v_mov_b32_e32 v2, s23
	v_add_co_u32_e32 v0, vcc, s22, v0
	v_addc_co_u32_e32 v1, vcc, v2, v1, vcc
	global_load_dword v3, v[0:1], off
	v_mul_f32_e32 v4, s38, v6
	s_mov_b64 s[0:1], 0
.LBB6_91:                               ; =>This Inner Loop Header: Depth=1
	s_waitcnt vmcnt(0)
	v_add_f32_e32 v2, v3, v4
	global_atomic_cmpswap v2, v[0:1], v[2:3], off glc
	s_waitcnt vmcnt(0)
	v_cmp_eq_u32_e32 vcc, v2, v3
	s_or_b64 s[0:1], vcc, s[0:1]
	v_mov_b32_e32 v3, v2
	s_andn2_b64 exec, exec, s[0:1]
	s_cbranch_execnz .LBB6_91
.LBB6_92:
	s_endpgm
	.section	.rodata,"a",@progbits
	.p2align	6, 0x0
	.amdhsa_kernel _ZN9rocsparseL19coomvn_atomic_loopsILj256ELj2EiffffEEvlNS_24const_host_device_scalarIT5_EEPKT1_S6_PKT2_PKT3_PT4_21rocsparse_index_base_b
		.amdhsa_group_segment_fixed_size 2048
		.amdhsa_private_segment_fixed_size 0
		.amdhsa_kernarg_size 64
		.amdhsa_user_sgpr_count 6
		.amdhsa_user_sgpr_private_segment_buffer 1
		.amdhsa_user_sgpr_dispatch_ptr 0
		.amdhsa_user_sgpr_queue_ptr 0
		.amdhsa_user_sgpr_kernarg_segment_ptr 1
		.amdhsa_user_sgpr_dispatch_id 0
		.amdhsa_user_sgpr_flat_scratch_init 0
		.amdhsa_user_sgpr_private_segment_size 0
		.amdhsa_uses_dynamic_stack 0
		.amdhsa_system_sgpr_private_segment_wavefront_offset 0
		.amdhsa_system_sgpr_workgroup_id_x 1
		.amdhsa_system_sgpr_workgroup_id_y 0
		.amdhsa_system_sgpr_workgroup_id_z 0
		.amdhsa_system_sgpr_workgroup_info 0
		.amdhsa_system_vgpr_workitem_id 0
		.amdhsa_next_free_vgpr 16
		.amdhsa_next_free_sgpr 42
		.amdhsa_reserve_vcc 1
		.amdhsa_reserve_flat_scratch 0
		.amdhsa_float_round_mode_32 0
		.amdhsa_float_round_mode_16_64 0
		.amdhsa_float_denorm_mode_32 3
		.amdhsa_float_denorm_mode_16_64 3
		.amdhsa_dx10_clamp 1
		.amdhsa_ieee_mode 1
		.amdhsa_fp16_overflow 0
		.amdhsa_exception_fp_ieee_invalid_op 0
		.amdhsa_exception_fp_denorm_src 0
		.amdhsa_exception_fp_ieee_div_zero 0
		.amdhsa_exception_fp_ieee_overflow 0
		.amdhsa_exception_fp_ieee_underflow 0
		.amdhsa_exception_fp_ieee_inexact 0
		.amdhsa_exception_int_div_zero 0
	.end_amdhsa_kernel
	.section	.text._ZN9rocsparseL19coomvn_atomic_loopsILj256ELj2EiffffEEvlNS_24const_host_device_scalarIT5_EEPKT1_S6_PKT2_PKT3_PT4_21rocsparse_index_base_b,"axG",@progbits,_ZN9rocsparseL19coomvn_atomic_loopsILj256ELj2EiffffEEvlNS_24const_host_device_scalarIT5_EEPKT1_S6_PKT2_PKT3_PT4_21rocsparse_index_base_b,comdat
.Lfunc_end6:
	.size	_ZN9rocsparseL19coomvn_atomic_loopsILj256ELj2EiffffEEvlNS_24const_host_device_scalarIT5_EEPKT1_S6_PKT2_PKT3_PT4_21rocsparse_index_base_b, .Lfunc_end6-_ZN9rocsparseL19coomvn_atomic_loopsILj256ELj2EiffffEEvlNS_24const_host_device_scalarIT5_EEPKT1_S6_PKT2_PKT3_PT4_21rocsparse_index_base_b
                                        ; -- End function
	.set _ZN9rocsparseL19coomvn_atomic_loopsILj256ELj2EiffffEEvlNS_24const_host_device_scalarIT5_EEPKT1_S6_PKT2_PKT3_PT4_21rocsparse_index_base_b.num_vgpr, 16
	.set _ZN9rocsparseL19coomvn_atomic_loopsILj256ELj2EiffffEEvlNS_24const_host_device_scalarIT5_EEPKT1_S6_PKT2_PKT3_PT4_21rocsparse_index_base_b.num_agpr, 0
	.set _ZN9rocsparseL19coomvn_atomic_loopsILj256ELj2EiffffEEvlNS_24const_host_device_scalarIT5_EEPKT1_S6_PKT2_PKT3_PT4_21rocsparse_index_base_b.numbered_sgpr, 42
	.set _ZN9rocsparseL19coomvn_atomic_loopsILj256ELj2EiffffEEvlNS_24const_host_device_scalarIT5_EEPKT1_S6_PKT2_PKT3_PT4_21rocsparse_index_base_b.num_named_barrier, 0
	.set _ZN9rocsparseL19coomvn_atomic_loopsILj256ELj2EiffffEEvlNS_24const_host_device_scalarIT5_EEPKT1_S6_PKT2_PKT3_PT4_21rocsparse_index_base_b.private_seg_size, 0
	.set _ZN9rocsparseL19coomvn_atomic_loopsILj256ELj2EiffffEEvlNS_24const_host_device_scalarIT5_EEPKT1_S6_PKT2_PKT3_PT4_21rocsparse_index_base_b.uses_vcc, 1
	.set _ZN9rocsparseL19coomvn_atomic_loopsILj256ELj2EiffffEEvlNS_24const_host_device_scalarIT5_EEPKT1_S6_PKT2_PKT3_PT4_21rocsparse_index_base_b.uses_flat_scratch, 0
	.set _ZN9rocsparseL19coomvn_atomic_loopsILj256ELj2EiffffEEvlNS_24const_host_device_scalarIT5_EEPKT1_S6_PKT2_PKT3_PT4_21rocsparse_index_base_b.has_dyn_sized_stack, 0
	.set _ZN9rocsparseL19coomvn_atomic_loopsILj256ELj2EiffffEEvlNS_24const_host_device_scalarIT5_EEPKT1_S6_PKT2_PKT3_PT4_21rocsparse_index_base_b.has_recursion, 0
	.set _ZN9rocsparseL19coomvn_atomic_loopsILj256ELj2EiffffEEvlNS_24const_host_device_scalarIT5_EEPKT1_S6_PKT2_PKT3_PT4_21rocsparse_index_base_b.has_indirect_call, 0
	.section	.AMDGPU.csdata,"",@progbits
; Kernel info:
; codeLenInByte = 2508
; TotalNumSgprs: 46
; NumVgprs: 16
; ScratchSize: 0
; MemoryBound: 0
; FloatMode: 240
; IeeeMode: 1
; LDSByteSize: 2048 bytes/workgroup (compile time only)
; SGPRBlocks: 5
; VGPRBlocks: 3
; NumSGPRsForWavesPerEU: 46
; NumVGPRsForWavesPerEU: 16
; Occupancy: 10
; WaveLimiterHint : 1
; COMPUTE_PGM_RSRC2:SCRATCH_EN: 0
; COMPUTE_PGM_RSRC2:USER_SGPR: 6
; COMPUTE_PGM_RSRC2:TRAP_HANDLER: 0
; COMPUTE_PGM_RSRC2:TGID_X_EN: 1
; COMPUTE_PGM_RSRC2:TGID_Y_EN: 0
; COMPUTE_PGM_RSRC2:TGID_Z_EN: 0
; COMPUTE_PGM_RSRC2:TIDIG_COMP_CNT: 0
	.section	.text._ZN9rocsparseL22coomvn_segmented_loopsILj256ElffffEEvlT0_NS_24const_host_device_scalarIT4_EEPKS1_S6_PKT1_PKT2_PT3_PS1_PS3_21rocsparse_index_base_b,"axG",@progbits,_ZN9rocsparseL22coomvn_segmented_loopsILj256ElffffEEvlT0_NS_24const_host_device_scalarIT4_EEPKS1_S6_PKT1_PKT2_PT3_PS1_PS3_21rocsparse_index_base_b,comdat
	.globl	_ZN9rocsparseL22coomvn_segmented_loopsILj256ElffffEEvlT0_NS_24const_host_device_scalarIT4_EEPKS1_S6_PKT1_PKT2_PT3_PS1_PS3_21rocsparse_index_base_b ; -- Begin function _ZN9rocsparseL22coomvn_segmented_loopsILj256ElffffEEvlT0_NS_24const_host_device_scalarIT4_EEPKS1_S6_PKT1_PKT2_PT3_PS1_PS3_21rocsparse_index_base_b
	.p2align	8
	.type	_ZN9rocsparseL22coomvn_segmented_loopsILj256ElffffEEvlT0_NS_24const_host_device_scalarIT4_EEPKS1_S6_PKT1_PKT2_PT3_PS1_PS3_21rocsparse_index_base_b,@function
_ZN9rocsparseL22coomvn_segmented_loopsILj256ElffffEEvlT0_NS_24const_host_device_scalarIT4_EEPKS1_S6_PKT1_PKT2_PT3_PS1_PS3_21rocsparse_index_base_b: ; @_ZN9rocsparseL22coomvn_segmented_loopsILj256ElffffEEvlT0_NS_24const_host_device_scalarIT4_EEPKS1_S6_PKT1_PKT2_PT3_PS1_PS3_21rocsparse_index_base_b
; %bb.0:
	s_load_dwordx2 s[44:45], s[4:5], 0x50
	s_load_dwordx2 s[34:35], s[4:5], 0x10
	s_waitcnt lgkmcnt(0)
	s_bitcmp1_b32 s45, 0
	s_cselect_b64 s[0:1], -1, 0
	s_and_b64 vcc, exec, s[0:1]
	s_cbranch_vccnz .LBB7_2
; %bb.1:
	s_load_dword s34, s[34:35], 0x0
.LBB7_2:
	s_waitcnt lgkmcnt(0)
	v_cmp_eq_f32_e64 s[0:1], s34, 0
	s_mov_b32 s7, 0
	s_and_b64 vcc, exec, s[0:1]
	s_cbranch_vccnz .LBB7_89
; %bb.3:
	s_load_dwordx4 s[28:31], s[4:5], 0x0
	s_load_dwordx8 s[36:43], s[4:5], 0x18
	v_mov_b32_e32 v1, -1
	v_mov_b32_e32 v2, -1
	v_mov_b32_e32 v17, 0
	s_waitcnt lgkmcnt(0)
	s_mul_i32 s1, s6, s31
	s_mul_hi_u32 s2, s6, s30
	s_mul_i32 s0, s6, s30
	s_add_i32 s1, s2, s1
	s_lshl_b64 s[0:1], s[0:1], 8
	v_or_b32_e32 v5, s0, v0
	v_mov_b32_e32 v6, s1
	v_cmp_gt_i64_e32 vcc, s[28:29], v[5:6]
	s_and_saveexec_b64 s[0:1], vcc
	s_cbranch_execz .LBB7_5
; %bb.4:
	v_lshlrev_b64 v[1:2], 3, v[5:6]
	v_mov_b32_e32 v4, s39
	v_add_co_u32_e32 v3, vcc, s38, v1
	v_addc_co_u32_e32 v4, vcc, v4, v2, vcc
	global_load_dwordx2 v[3:4], v[3:4], off glc slc
	v_mov_b32_e32 v9, s37
	v_lshlrev_b64 v[7:8], 2, v[5:6]
	v_add_co_u32_e32 v1, vcc, s36, v1
	v_addc_co_u32_e32 v2, vcc, v9, v2, vcc
	v_mov_b32_e32 v10, s41
	v_add_co_u32_e32 v7, vcc, s40, v7
	v_addc_co_u32_e32 v8, vcc, v10, v8, vcc
	global_load_dwordx2 v[9:10], v[1:2], off glc slc
	global_load_dword v13, v[7:8], off glc slc
	v_mov_b32_e32 v11, s43
	s_ashr_i32 s45, s44, 31
	s_lshl_b64 s[2:3], s[44:45], 2
	v_mov_b32_e32 v12, s3
	s_waitcnt vmcnt(2)
	v_lshlrev_b64 v[1:2], 2, v[3:4]
	v_add_co_u32_e32 v1, vcc, s42, v1
	v_addc_co_u32_e32 v2, vcc, v11, v2, vcc
	v_subrev_co_u32_e32 v1, vcc, s2, v1
	v_subb_co_u32_e32 v2, vcc, v2, v12, vcc
	global_load_dword v3, v[1:2], off
	s_waitcnt vmcnt(2)
	v_subrev_co_u32_e32 v1, vcc, s44, v9
	v_subbrev_co_u32_e32 v2, vcc, 0, v10, vcc
	s_waitcnt vmcnt(0)
	v_mul_f32_e32 v17, v13, v3
.LBB7_5:
	s_or_b64 exec, exec, s[0:1]
	v_lshlrev_b32_e32 v13, 3, v0
	v_lshlrev_b32_e32 v9, 2, v0
	v_or_b32_e32 v14, 0x800, v9
	v_cmp_eq_u32_e64 s[0:1], 0, v0
	v_cmp_ne_u32_e64 s[2:3], 0, v0
	v_add_u32_e32 v15, -8, v13
	ds_write_b64 v13, v[1:2]
	ds_write_b32 v9, v17 offset:2048
	s_waitcnt lgkmcnt(0)
	s_barrier
	s_and_saveexec_b64 s[8:9], s[2:3]
	s_cbranch_execz .LBB7_9
; %bb.6:
	ds_read_b64 v[3:4], v15
	s_waitcnt lgkmcnt(0)
	v_cmp_eq_u64_e32 vcc, v[1:2], v[3:4]
	s_and_saveexec_b64 s[10:11], vcc
	s_cbranch_execz .LBB7_8
; %bb.7:
	v_add_u32_e32 v3, -4, v14
	ds_read_b32 v3, v3
	s_waitcnt lgkmcnt(0)
	v_add_f32_e32 v17, v17, v3
.LBB7_8:
	s_or_b64 exec, exec, s[10:11]
.LBB7_9:
	s_or_b64 exec, exec, s[8:9]
	v_cmp_lt_u32_e64 s[22:23], 1, v0
	v_add_u32_e32 v16, -16, v13
	s_barrier
	ds_write_b32 v14, v17
	s_waitcnt lgkmcnt(0)
	s_barrier
	s_and_saveexec_b64 s[8:9], s[22:23]
	s_cbranch_execz .LBB7_13
; %bb.10:
	ds_read_b64 v[3:4], v16
	s_waitcnt lgkmcnt(0)
	v_cmp_eq_u64_e32 vcc, v[1:2], v[3:4]
	s_and_saveexec_b64 s[10:11], vcc
	s_cbranch_execz .LBB7_12
; %bb.11:
	v_add_u32_e32 v3, -8, v14
	ds_read_b32 v3, v3
	s_waitcnt lgkmcnt(0)
	v_add_f32_e32 v17, v17, v3
.LBB7_12:
	s_or_b64 exec, exec, s[10:11]
.LBB7_13:
	s_or_b64 exec, exec, s[8:9]
	v_cmp_lt_u32_e64 s[8:9], 3, v0
	v_subrev_u32_e32 v18, 32, v13
	s_barrier
	ds_write_b32 v14, v17
	s_waitcnt lgkmcnt(0)
	s_barrier
	s_and_saveexec_b64 s[10:11], s[8:9]
	s_cbranch_execz .LBB7_17
; %bb.14:
	ds_read_b64 v[3:4], v18
	s_waitcnt lgkmcnt(0)
	v_cmp_eq_u64_e32 vcc, v[1:2], v[3:4]
	s_and_saveexec_b64 s[12:13], vcc
	s_cbranch_execz .LBB7_16
; %bb.15:
	v_add_u32_e32 v3, -16, v14
	ds_read_b32 v3, v3
	s_waitcnt lgkmcnt(0)
	v_add_f32_e32 v17, v17, v3
.LBB7_16:
	s_or_b64 exec, exec, s[12:13]
.LBB7_17:
	s_or_b64 exec, exec, s[10:11]
	v_cmp_lt_u32_e64 s[10:11], 7, v0
	v_subrev_u32_e32 v19, 64, v13
	s_barrier
	ds_write_b32 v14, v17
	s_waitcnt lgkmcnt(0)
	s_barrier
	s_and_saveexec_b64 s[12:13], s[10:11]
	s_cbranch_execz .LBB7_21
; %bb.18:
	ds_read_b64 v[3:4], v19
	s_waitcnt lgkmcnt(0)
	v_cmp_eq_u64_e32 vcc, v[1:2], v[3:4]
	s_and_saveexec_b64 s[14:15], vcc
	s_cbranch_execz .LBB7_20
; %bb.19:
	v_subrev_u32_e32 v3, 32, v14
	ds_read_b32 v3, v3
	s_waitcnt lgkmcnt(0)
	v_add_f32_e32 v17, v17, v3
.LBB7_20:
	s_or_b64 exec, exec, s[14:15]
.LBB7_21:
	s_or_b64 exec, exec, s[12:13]
	v_cmp_lt_u32_e64 s[12:13], 15, v0
	s_barrier
	ds_write_b32 v14, v17
	s_waitcnt lgkmcnt(0)
	s_barrier
	s_and_saveexec_b64 s[14:15], s[12:13]
	s_cbranch_execz .LBB7_25
; %bb.22:
	v_add_u32_e32 v3, 0xffffff80, v13
	ds_read_b64 v[3:4], v3
	s_waitcnt lgkmcnt(0)
	v_cmp_eq_u64_e32 vcc, v[1:2], v[3:4]
	s_and_saveexec_b64 s[16:17], vcc
	s_cbranch_execz .LBB7_24
; %bb.23:
	v_subrev_u32_e32 v3, 64, v14
	ds_read_b32 v3, v3
	s_waitcnt lgkmcnt(0)
	v_add_f32_e32 v17, v17, v3
.LBB7_24:
	s_or_b64 exec, exec, s[16:17]
.LBB7_25:
	s_or_b64 exec, exec, s[14:15]
	v_cmp_lt_u32_e64 s[14:15], 31, v0
	s_barrier
	ds_write_b32 v14, v17
	s_waitcnt lgkmcnt(0)
	s_barrier
	s_and_saveexec_b64 s[16:17], s[14:15]
	s_cbranch_execz .LBB7_29
; %bb.26:
	v_add_u32_e32 v3, 0xffffff00, v13
	ds_read_b64 v[3:4], v3
	s_waitcnt lgkmcnt(0)
	v_cmp_eq_u64_e32 vcc, v[1:2], v[3:4]
	s_and_saveexec_b64 s[18:19], vcc
	s_cbranch_execz .LBB7_28
; %bb.27:
	v_add_u32_e32 v3, 0xffffff80, v14
	ds_read_b32 v3, v3
	s_waitcnt lgkmcnt(0)
	v_add_f32_e32 v17, v17, v3
.LBB7_28:
	s_or_b64 exec, exec, s[18:19]
.LBB7_29:
	s_or_b64 exec, exec, s[16:17]
	v_cmp_lt_u32_e64 s[16:17], 63, v0
	s_barrier
	ds_write_b32 v14, v17
	s_waitcnt lgkmcnt(0)
	s_barrier
	s_and_saveexec_b64 s[18:19], s[16:17]
	s_cbranch_execz .LBB7_33
; %bb.30:
	v_add_u32_e32 v3, 0xfffffe00, v13
	ds_read_b64 v[3:4], v3
	s_waitcnt lgkmcnt(0)
	v_cmp_eq_u64_e32 vcc, v[1:2], v[3:4]
	s_and_saveexec_b64 s[20:21], vcc
	s_cbranch_execz .LBB7_32
; %bb.31:
	v_add_u32_e32 v3, 0xffffff00, v14
	ds_read_b32 v3, v3
	s_waitcnt lgkmcnt(0)
	v_add_f32_e32 v17, v17, v3
.LBB7_32:
	s_or_b64 exec, exec, s[20:21]
.LBB7_33:
	s_or_b64 exec, exec, s[18:19]
	s_load_dwordx2 s[46:47], s[4:5], 0x38
	s_movk_i32 s18, 0x7f
	v_cmp_lt_u32_e64 s[18:19], s18, v0
	s_waitcnt lgkmcnt(0)
	s_barrier
	ds_write_b32 v14, v17
	s_waitcnt lgkmcnt(0)
	s_barrier
	s_and_saveexec_b64 s[20:21], s[18:19]
	s_cbranch_execz .LBB7_37
; %bb.34:
	v_add_u32_e32 v3, 0xfffffc00, v13
	ds_read_b64 v[3:4], v3
	s_waitcnt lgkmcnt(0)
	v_cmp_eq_u64_e32 vcc, v[1:2], v[3:4]
	s_and_saveexec_b64 s[24:25], vcc
	s_cbranch_execz .LBB7_36
; %bb.35:
	v_add_u32_e32 v3, 0xfffffe00, v14
	ds_read_b32 v3, v3
	s_waitcnt lgkmcnt(0)
	v_add_f32_e32 v17, v17, v3
.LBB7_36:
	s_or_b64 exec, exec, s[24:25]
.LBB7_37:
	s_or_b64 exec, exec, s[20:21]
	s_movk_i32 s20, 0xff
	v_cmp_gt_u32_e64 s[20:21], s20, v0
	s_barrier
	ds_write_b32 v14, v17
	s_waitcnt lgkmcnt(0)
	s_barrier
	s_and_saveexec_b64 s[26:27], s[20:21]
	s_cbranch_execz .LBB7_40
; %bb.38:
	ds_read_b64 v[3:4], v13 offset:8
	v_cmp_lt_i64_e64 s[24:25], -1, v[1:2]
	s_waitcnt lgkmcnt(0)
	v_cmp_ne_u64_e32 vcc, v[1:2], v[3:4]
	s_and_b64 s[24:25], s[24:25], vcc
	s_and_b64 exec, exec, s[24:25]
	s_cbranch_execz .LBB7_40
; %bb.39:
	v_lshlrev_b64 v[3:4], 2, v[1:2]
	v_mov_b32_e32 v7, s47
	v_add_co_u32_e32 v3, vcc, s46, v3
	v_addc_co_u32_e32 v4, vcc, v7, v4, vcc
	global_load_dword v7, v[3:4], off
	s_waitcnt vmcnt(0)
	v_fmac_f32_e32 v7, s34, v17
	global_store_dword v[3:4], v7, off
.LBB7_40:
	s_or_b64 exec, exec, s[26:27]
	s_load_dwordx4 s[24:27], s[4:5], 0x40
	v_cmp_lt_i64_e64 s[4:5], s[30:31], 2
	s_and_b64 vcc, exec, s[4:5]
	s_cbranch_vccnz .LBB7_87
; %bb.41:
	s_add_u32 s48, s30, -1
	s_addc_u32 s49, s31, -1
	s_ashr_i32 s45, s44, 31
	s_lshl_b64 s[4:5], s[44:45], 2
	s_sub_u32 s33, s42, s4
	s_subb_u32 s35, s43, s5
	s_mul_i32 s4, s31, s6
	s_mul_hi_u32 s5, s30, s6
	s_add_i32 s5, s5, s4
	s_mul_i32 s4, s30, s6
	s_lshl_b64 s[30:31], s[4:5], 11
	v_lshl_or_b32 v1, v0, 3, s30
	s_movk_i32 s30, 0x800
	v_mov_b32_e32 v2, s31
	v_add_co_u32_e32 v1, vcc, s30, v1
	v_addc_co_u32_e32 v2, vcc, 0, v2, vcc
	v_mov_b32_e32 v4, s39
	v_add_co_u32_e32 v3, vcc, s38, v1
	v_addc_co_u32_e32 v4, vcc, v4, v2, vcc
	v_mov_b32_e32 v8, s37
	v_add_co_u32_e32 v7, vcc, s36, v1
	s_lshl_b64 s[4:5], s[4:5], 10
	v_addc_co_u32_e32 v8, vcc, v8, v2, vcc
	s_movk_i32 s30, 0x100
	s_add_u32 s4, s40, s4
	v_add_co_u32_e32 v5, vcc, s30, v5
	s_addc_u32 s5, s41, s5
	v_addc_co_u32_e32 v6, vcc, 0, v6, vcc
	v_mov_b32_e32 v1, s5
	v_add_co_u32_e32 v2, vcc, s4, v9
	v_addc_co_u32_e32 v1, vcc, 0, v1, vcc
	s_movk_i32 s4, 0x400
	v_add_co_u32_e32 v9, vcc, s4, v2
	v_add_u32_e32 v20, 0xffffff80, v13
	v_subrev_u32_e32 v21, 64, v14
	v_add_u32_e32 v22, 0xffffff00, v13
	v_add_u32_e32 v23, 0xffffff80, v14
	v_addc_co_u32_e32 v10, vcc, 0, v1, vcc
	v_add_u32_e32 v24, 0xfffffe00, v13
	s_mov_b64 s[30:31], 0
	v_add_u32_e32 v25, 0xffffff00, v14
	v_add_u32_e32 v26, 0xfffffc00, v13
	;; [unrolled: 1-line block ×3, first 2 shown]
	v_mov_b32_e32 v28, 0
	s_branch .LBB7_43
.LBB7_42:                               ;   in Loop: Header=BB7_43 Depth=1
	s_or_b64 exec, exec, s[36:37]
	v_add_co_u32_e32 v3, vcc, 0x800, v3
	v_addc_co_u32_e32 v4, vcc, 0, v4, vcc
	v_add_co_u32_e32 v9, vcc, 0x400, v9
	v_addc_co_u32_e32 v10, vcc, 0, v10, vcc
	s_add_u32 s30, s30, 1
	v_add_co_u32_e32 v7, vcc, 0x800, v7
	s_addc_u32 s31, s31, 0
	v_mov_b32_e32 v11, s30
	v_addc_co_u32_e32 v8, vcc, 0, v8, vcc
	v_mov_b32_e32 v12, s31
	v_add_co_u32_e32 v5, vcc, 0x100, v5
	v_cmp_le_u64_e64 s[4:5], s[48:49], v[11:12]
	v_addc_co_u32_e32 v6, vcc, 0, v6, vcc
	s_and_b64 vcc, exec, s[4:5]
	s_cbranch_vccnz .LBB7_87
.LBB7_43:                               ; =>This Inner Loop Header: Depth=1
	v_cmp_gt_i64_e32 vcc, s[28:29], v[5:6]
	v_mov_b32_e32 v1, -1
	v_mov_b32_e32 v2, -1
	v_mov_b32_e32 v17, 0
	s_and_saveexec_b64 s[4:5], vcc
	s_cbranch_execz .LBB7_45
; %bb.44:                               ;   in Loop: Header=BB7_43 Depth=1
	global_load_dwordx2 v[1:2], v[3:4], off glc slc
	global_load_dwordx2 v[11:12], v[7:8], off glc slc
	global_load_dword v17, v[9:10], off glc slc
	v_mov_b32_e32 v29, s35
	s_waitcnt vmcnt(2)
	v_lshlrev_b64 v[1:2], 2, v[1:2]
	v_add_co_u32_e32 v1, vcc, s33, v1
	v_addc_co_u32_e32 v2, vcc, v29, v2, vcc
	global_load_dword v29, v[1:2], off
	s_waitcnt vmcnt(2)
	v_subrev_co_u32_e32 v1, vcc, s44, v11
	v_subbrev_co_u32_e32 v2, vcc, 0, v12, vcc
	s_waitcnt vmcnt(0)
	v_mul_f32_e32 v17, v17, v29
.LBB7_45:                               ;   in Loop: Header=BB7_43 Depth=1
	s_or_b64 exec, exec, s[4:5]
	s_and_saveexec_b64 s[4:5], s[0:1]
	s_cbranch_execz .LBB7_52
; %bb.46:                               ;   in Loop: Header=BB7_43 Depth=1
	ds_read_b64 v[11:12], v28 offset:2040
	s_waitcnt lgkmcnt(0)
	v_cmp_ne_u64_e32 vcc, v[1:2], v[11:12]
	s_and_saveexec_b64 s[36:37], vcc
	s_xor_b64 s[36:37], exec, s[36:37]
	s_cbranch_execz .LBB7_49
; %bb.47:                               ;   in Loop: Header=BB7_43 Depth=1
	v_cmp_gt_i64_e32 vcc, 0, v[11:12]
	s_cbranch_vccnz .LBB7_49
; %bb.48:                               ;   in Loop: Header=BB7_43 Depth=1
	v_lshlrev_b64 v[11:12], 2, v[11:12]
	v_mov_b32_e32 v29, s47
	v_add_co_u32_e32 v11, vcc, s46, v11
	v_addc_co_u32_e32 v12, vcc, v29, v12, vcc
	global_load_dword v29, v[11:12], off
	ds_read_b32 v30, v28 offset:3068
	s_waitcnt vmcnt(0) lgkmcnt(0)
	v_fmac_f32_e32 v29, s34, v30
	global_store_dword v[11:12], v29, off
.LBB7_49:                               ;   in Loop: Header=BB7_43 Depth=1
	s_andn2_saveexec_b64 s[36:37], s[36:37]
	s_cbranch_execz .LBB7_51
; %bb.50:                               ;   in Loop: Header=BB7_43 Depth=1
	ds_read_b32 v11, v28 offset:3068
	s_waitcnt lgkmcnt(0)
	v_add_f32_e32 v17, v17, v11
.LBB7_51:                               ;   in Loop: Header=BB7_43 Depth=1
	s_or_b64 exec, exec, s[36:37]
.LBB7_52:                               ;   in Loop: Header=BB7_43 Depth=1
	s_or_b64 exec, exec, s[4:5]
	s_waitcnt vmcnt(0) lgkmcnt(0)
	s_barrier
	ds_write_b64 v13, v[1:2]
	ds_write_b32 v14, v17
	s_waitcnt lgkmcnt(0)
	s_barrier
	s_and_saveexec_b64 s[4:5], s[2:3]
	s_cbranch_execz .LBB7_56
; %bb.53:                               ;   in Loop: Header=BB7_43 Depth=1
	ds_read_b64 v[11:12], v15
	s_waitcnt lgkmcnt(0)
	v_cmp_eq_u64_e32 vcc, v[1:2], v[11:12]
	s_and_saveexec_b64 s[36:37], vcc
	s_cbranch_execz .LBB7_55
; %bb.54:                               ;   in Loop: Header=BB7_43 Depth=1
	v_add_u32_e32 v11, -4, v14
	ds_read_b32 v11, v11
	s_waitcnt lgkmcnt(0)
	v_add_f32_e32 v17, v17, v11
.LBB7_55:                               ;   in Loop: Header=BB7_43 Depth=1
	s_or_b64 exec, exec, s[36:37]
.LBB7_56:                               ;   in Loop: Header=BB7_43 Depth=1
	s_or_b64 exec, exec, s[4:5]
	s_barrier
	ds_write_b32 v14, v17
	s_waitcnt lgkmcnt(0)
	s_barrier
	s_and_saveexec_b64 s[4:5], s[22:23]
	s_cbranch_execz .LBB7_60
; %bb.57:                               ;   in Loop: Header=BB7_43 Depth=1
	ds_read_b64 v[11:12], v16
	s_waitcnt lgkmcnt(0)
	v_cmp_eq_u64_e32 vcc, v[1:2], v[11:12]
	s_and_saveexec_b64 s[36:37], vcc
	s_cbranch_execz .LBB7_59
; %bb.58:                               ;   in Loop: Header=BB7_43 Depth=1
	v_add_u32_e32 v11, -8, v14
	ds_read_b32 v11, v11
	s_waitcnt lgkmcnt(0)
	v_add_f32_e32 v17, v17, v11
.LBB7_59:                               ;   in Loop: Header=BB7_43 Depth=1
	s_or_b64 exec, exec, s[36:37]
.LBB7_60:                               ;   in Loop: Header=BB7_43 Depth=1
	s_or_b64 exec, exec, s[4:5]
	s_barrier
	;; [unrolled: 21-line block ×3, first 2 shown]
	ds_write_b32 v14, v17
	s_waitcnt lgkmcnt(0)
	s_barrier
	s_and_saveexec_b64 s[4:5], s[10:11]
	s_cbranch_execz .LBB7_68
; %bb.65:                               ;   in Loop: Header=BB7_43 Depth=1
	ds_read_b64 v[11:12], v19
	s_waitcnt lgkmcnt(0)
	v_cmp_eq_u64_e32 vcc, v[1:2], v[11:12]
	s_and_saveexec_b64 s[36:37], vcc
	s_cbranch_execz .LBB7_67
; %bb.66:                               ;   in Loop: Header=BB7_43 Depth=1
	v_subrev_u32_e32 v11, 32, v14
	ds_read_b32 v11, v11
	s_waitcnt lgkmcnt(0)
	v_add_f32_e32 v17, v17, v11
.LBB7_67:                               ;   in Loop: Header=BB7_43 Depth=1
	s_or_b64 exec, exec, s[36:37]
.LBB7_68:                               ;   in Loop: Header=BB7_43 Depth=1
	s_or_b64 exec, exec, s[4:5]
	s_barrier
	ds_write_b32 v14, v17
	s_waitcnt lgkmcnt(0)
	s_barrier
	s_and_saveexec_b64 s[4:5], s[12:13]
	s_cbranch_execz .LBB7_72
; %bb.69:                               ;   in Loop: Header=BB7_43 Depth=1
	ds_read_b64 v[11:12], v20
	s_waitcnt lgkmcnt(0)
	v_cmp_eq_u64_e32 vcc, v[1:2], v[11:12]
	s_and_saveexec_b64 s[36:37], vcc
	s_cbranch_execz .LBB7_71
; %bb.70:                               ;   in Loop: Header=BB7_43 Depth=1
	ds_read_b32 v11, v21
	s_waitcnt lgkmcnt(0)
	v_add_f32_e32 v17, v17, v11
.LBB7_71:                               ;   in Loop: Header=BB7_43 Depth=1
	s_or_b64 exec, exec, s[36:37]
.LBB7_72:                               ;   in Loop: Header=BB7_43 Depth=1
	s_or_b64 exec, exec, s[4:5]
	s_barrier
	ds_write_b32 v14, v17
	s_waitcnt lgkmcnt(0)
	s_barrier
	s_and_saveexec_b64 s[4:5], s[14:15]
	s_cbranch_execz .LBB7_76
; %bb.73:                               ;   in Loop: Header=BB7_43 Depth=1
	ds_read_b64 v[11:12], v22
	s_waitcnt lgkmcnt(0)
	v_cmp_eq_u64_e32 vcc, v[1:2], v[11:12]
	s_and_saveexec_b64 s[36:37], vcc
	s_cbranch_execz .LBB7_75
; %bb.74:                               ;   in Loop: Header=BB7_43 Depth=1
	ds_read_b32 v11, v23
	s_waitcnt lgkmcnt(0)
	v_add_f32_e32 v17, v17, v11
.LBB7_75:                               ;   in Loop: Header=BB7_43 Depth=1
	s_or_b64 exec, exec, s[36:37]
.LBB7_76:                               ;   in Loop: Header=BB7_43 Depth=1
	;; [unrolled: 20-line block ×4, first 2 shown]
	s_or_b64 exec, exec, s[4:5]
	s_barrier
	ds_write_b32 v14, v17
	s_waitcnt lgkmcnt(0)
	s_barrier
	s_and_saveexec_b64 s[36:37], s[20:21]
	s_cbranch_execz .LBB7_42
; %bb.85:                               ;   in Loop: Header=BB7_43 Depth=1
	ds_read_b64 v[11:12], v13 offset:8
	v_cmp_lt_i64_e64 s[4:5], -1, v[1:2]
	s_waitcnt lgkmcnt(0)
	v_cmp_ne_u64_e32 vcc, v[1:2], v[11:12]
	s_and_b64 s[4:5], s[4:5], vcc
	s_and_b64 exec, exec, s[4:5]
	s_cbranch_execz .LBB7_42
; %bb.86:                               ;   in Loop: Header=BB7_43 Depth=1
	v_lshlrev_b64 v[11:12], 2, v[1:2]
	v_mov_b32_e32 v29, s47
	v_add_co_u32_e32 v11, vcc, s46, v11
	v_addc_co_u32_e32 v12, vcc, v29, v12, vcc
	global_load_dword v29, v[11:12], off
	s_waitcnt vmcnt(0)
	v_fmac_f32_e32 v29, s34, v17
	global_store_dword v[11:12], v29, off
	s_branch .LBB7_42
.LBB7_87:
	s_movk_i32 s0, 0xff
	v_cmp_eq_u32_e32 vcc, s0, v0
	s_and_saveexec_b64 s[0:1], vcc
	s_cbranch_execz .LBB7_89
; %bb.88:
	s_lshl_b64 s[0:1], s[6:7], 3
	s_waitcnt lgkmcnt(0)
	s_add_u32 s0, s24, s0
	s_addc_u32 s1, s25, s1
	s_lshl_b64 s[2:3], s[6:7], 2
	v_mov_b32_e32 v0, 0
	s_add_u32 s2, s26, s2
	v_mul_f32_e32 v3, s34, v17
	s_addc_u32 s3, s27, s3
	global_store_dwordx2 v0, v[1:2], s[0:1] glc slc
	global_store_dword v0, v3, s[2:3] glc slc
.LBB7_89:
	s_endpgm
	.section	.rodata,"a",@progbits
	.p2align	6, 0x0
	.amdhsa_kernel _ZN9rocsparseL22coomvn_segmented_loopsILj256ElffffEEvlT0_NS_24const_host_device_scalarIT4_EEPKS1_S6_PKT1_PKT2_PT3_PS1_PS3_21rocsparse_index_base_b
		.amdhsa_group_segment_fixed_size 3072
		.amdhsa_private_segment_fixed_size 0
		.amdhsa_kernarg_size 88
		.amdhsa_user_sgpr_count 6
		.amdhsa_user_sgpr_private_segment_buffer 1
		.amdhsa_user_sgpr_dispatch_ptr 0
		.amdhsa_user_sgpr_queue_ptr 0
		.amdhsa_user_sgpr_kernarg_segment_ptr 1
		.amdhsa_user_sgpr_dispatch_id 0
		.amdhsa_user_sgpr_flat_scratch_init 0
		.amdhsa_user_sgpr_private_segment_size 0
		.amdhsa_uses_dynamic_stack 0
		.amdhsa_system_sgpr_private_segment_wavefront_offset 0
		.amdhsa_system_sgpr_workgroup_id_x 1
		.amdhsa_system_sgpr_workgroup_id_y 0
		.amdhsa_system_sgpr_workgroup_id_z 0
		.amdhsa_system_sgpr_workgroup_info 0
		.amdhsa_system_vgpr_workitem_id 0
		.amdhsa_next_free_vgpr 31
		.amdhsa_next_free_sgpr 50
		.amdhsa_reserve_vcc 1
		.amdhsa_reserve_flat_scratch 0
		.amdhsa_float_round_mode_32 0
		.amdhsa_float_round_mode_16_64 0
		.amdhsa_float_denorm_mode_32 3
		.amdhsa_float_denorm_mode_16_64 3
		.amdhsa_dx10_clamp 1
		.amdhsa_ieee_mode 1
		.amdhsa_fp16_overflow 0
		.amdhsa_exception_fp_ieee_invalid_op 0
		.amdhsa_exception_fp_denorm_src 0
		.amdhsa_exception_fp_ieee_div_zero 0
		.amdhsa_exception_fp_ieee_overflow 0
		.amdhsa_exception_fp_ieee_underflow 0
		.amdhsa_exception_fp_ieee_inexact 0
		.amdhsa_exception_int_div_zero 0
	.end_amdhsa_kernel
	.section	.text._ZN9rocsparseL22coomvn_segmented_loopsILj256ElffffEEvlT0_NS_24const_host_device_scalarIT4_EEPKS1_S6_PKT1_PKT2_PT3_PS1_PS3_21rocsparse_index_base_b,"axG",@progbits,_ZN9rocsparseL22coomvn_segmented_loopsILj256ElffffEEvlT0_NS_24const_host_device_scalarIT4_EEPKS1_S6_PKT1_PKT2_PT3_PS1_PS3_21rocsparse_index_base_b,comdat
.Lfunc_end7:
	.size	_ZN9rocsparseL22coomvn_segmented_loopsILj256ElffffEEvlT0_NS_24const_host_device_scalarIT4_EEPKS1_S6_PKT1_PKT2_PT3_PS1_PS3_21rocsparse_index_base_b, .Lfunc_end7-_ZN9rocsparseL22coomvn_segmented_loopsILj256ElffffEEvlT0_NS_24const_host_device_scalarIT4_EEPKS1_S6_PKT1_PKT2_PT3_PS1_PS3_21rocsparse_index_base_b
                                        ; -- End function
	.set _ZN9rocsparseL22coomvn_segmented_loopsILj256ElffffEEvlT0_NS_24const_host_device_scalarIT4_EEPKS1_S6_PKT1_PKT2_PT3_PS1_PS3_21rocsparse_index_base_b.num_vgpr, 31
	.set _ZN9rocsparseL22coomvn_segmented_loopsILj256ElffffEEvlT0_NS_24const_host_device_scalarIT4_EEPKS1_S6_PKT1_PKT2_PT3_PS1_PS3_21rocsparse_index_base_b.num_agpr, 0
	.set _ZN9rocsparseL22coomvn_segmented_loopsILj256ElffffEEvlT0_NS_24const_host_device_scalarIT4_EEPKS1_S6_PKT1_PKT2_PT3_PS1_PS3_21rocsparse_index_base_b.numbered_sgpr, 50
	.set _ZN9rocsparseL22coomvn_segmented_loopsILj256ElffffEEvlT0_NS_24const_host_device_scalarIT4_EEPKS1_S6_PKT1_PKT2_PT3_PS1_PS3_21rocsparse_index_base_b.num_named_barrier, 0
	.set _ZN9rocsparseL22coomvn_segmented_loopsILj256ElffffEEvlT0_NS_24const_host_device_scalarIT4_EEPKS1_S6_PKT1_PKT2_PT3_PS1_PS3_21rocsparse_index_base_b.private_seg_size, 0
	.set _ZN9rocsparseL22coomvn_segmented_loopsILj256ElffffEEvlT0_NS_24const_host_device_scalarIT4_EEPKS1_S6_PKT1_PKT2_PT3_PS1_PS3_21rocsparse_index_base_b.uses_vcc, 1
	.set _ZN9rocsparseL22coomvn_segmented_loopsILj256ElffffEEvlT0_NS_24const_host_device_scalarIT4_EEPKS1_S6_PKT1_PKT2_PT3_PS1_PS3_21rocsparse_index_base_b.uses_flat_scratch, 0
	.set _ZN9rocsparseL22coomvn_segmented_loopsILj256ElffffEEvlT0_NS_24const_host_device_scalarIT4_EEPKS1_S6_PKT1_PKT2_PT3_PS1_PS3_21rocsparse_index_base_b.has_dyn_sized_stack, 0
	.set _ZN9rocsparseL22coomvn_segmented_loopsILj256ElffffEEvlT0_NS_24const_host_device_scalarIT4_EEPKS1_S6_PKT1_PKT2_PT3_PS1_PS3_21rocsparse_index_base_b.has_recursion, 0
	.set _ZN9rocsparseL22coomvn_segmented_loopsILj256ElffffEEvlT0_NS_24const_host_device_scalarIT4_EEPKS1_S6_PKT1_PKT2_PT3_PS1_PS3_21rocsparse_index_base_b.has_indirect_call, 0
	.section	.AMDGPU.csdata,"",@progbits
; Kernel info:
; codeLenInByte = 2596
; TotalNumSgprs: 54
; NumVgprs: 31
; ScratchSize: 0
; MemoryBound: 1
; FloatMode: 240
; IeeeMode: 1
; LDSByteSize: 3072 bytes/workgroup (compile time only)
; SGPRBlocks: 6
; VGPRBlocks: 7
; NumSGPRsForWavesPerEU: 54
; NumVGPRsForWavesPerEU: 31
; Occupancy: 8
; WaveLimiterHint : 1
; COMPUTE_PGM_RSRC2:SCRATCH_EN: 0
; COMPUTE_PGM_RSRC2:USER_SGPR: 6
; COMPUTE_PGM_RSRC2:TRAP_HANDLER: 0
; COMPUTE_PGM_RSRC2:TGID_X_EN: 1
; COMPUTE_PGM_RSRC2:TGID_Y_EN: 0
; COMPUTE_PGM_RSRC2:TGID_Z_EN: 0
; COMPUTE_PGM_RSRC2:TIDIG_COMP_CNT: 0
	.section	.text._ZN9rocsparseL29coomvn_segmented_loops_reduceILj256ElffEEvT0_NS_24const_host_device_scalarIT2_EEPKS1_PKS3_PT1_b,"axG",@progbits,_ZN9rocsparseL29coomvn_segmented_loops_reduceILj256ElffEEvT0_NS_24const_host_device_scalarIT2_EEPKS1_PKS3_PT1_b,comdat
	.globl	_ZN9rocsparseL29coomvn_segmented_loops_reduceILj256ElffEEvT0_NS_24const_host_device_scalarIT2_EEPKS1_PKS3_PT1_b ; -- Begin function _ZN9rocsparseL29coomvn_segmented_loops_reduceILj256ElffEEvT0_NS_24const_host_device_scalarIT2_EEPKS1_PKS3_PT1_b
	.p2align	8
	.type	_ZN9rocsparseL29coomvn_segmented_loops_reduceILj256ElffEEvT0_NS_24const_host_device_scalarIT2_EEPKS1_PKS3_PT1_b,@function
_ZN9rocsparseL29coomvn_segmented_loops_reduceILj256ElffEEvT0_NS_24const_host_device_scalarIT2_EEPKS1_PKS3_PT1_b: ; @_ZN9rocsparseL29coomvn_segmented_loops_reduceILj256ElffEEvT0_NS_24const_host_device_scalarIT2_EEPKS1_PKS3_PT1_b
; %bb.0:
	s_load_dword s0, s[4:5], 0x28
	s_load_dwordx4 s[8:11], s[4:5], 0x0
	s_waitcnt lgkmcnt(0)
	s_bitcmp1_b32 s0, 0
	s_cselect_b64 s[0:1], -1, 0
	s_and_b64 vcc, exec, s[0:1]
	s_cbranch_vccnz .LBB8_2
; %bb.1:
	s_load_dword s10, s[10:11], 0x0
.LBB8_2:
	s_waitcnt lgkmcnt(0)
	v_cmp_eq_f32_e64 s[0:1], s10, 0
	s_and_b64 vcc, exec, s[0:1]
	s_cbranch_vccnz .LBB8_44
; %bb.3:
	v_cmp_lt_i64_e64 s[0:1], s[8:9], 1
	s_and_b64 vcc, exec, s[0:1]
	s_cbranch_vccnz .LBB8_44
; %bb.4:
	v_subrev_co_u32_e32 v2, vcc, 1, v0
	v_mov_b32_e32 v3, 0x800
	s_xor_b64 s[10:11], vcc, -1
	v_lshl_add_u32 v11, v2, 2, v3
	v_subrev_co_u32_e32 v2, vcc, 2, v0
	s_xor_b64 s[16:17], vcc, -1
	v_lshl_add_u32 v12, v2, 2, v3
	v_subrev_co_u32_e32 v2, vcc, 4, v0
	;; [unrolled: 3-line block ×3, first 2 shown]
	s_load_dwordx4 s[12:15], s[4:5], 0x10
	s_load_dwordx2 s[6:7], s[4:5], 0x20
	s_xor_b64 s[20:21], vcc, -1
	v_lshl_add_u32 v14, v2, 2, v3
	v_subrev_co_u32_e32 v2, vcc, 16, v0
	s_xor_b64 s[22:23], vcc, -1
	v_lshl_add_u32 v15, v2, 2, v3
	v_subrev_co_u32_e32 v2, vcc, 32, v0
	v_lshl_add_u32 v16, v2, 2, v3
	v_subrev_co_u32_e64 v2, s[0:1], 64, v0
	s_movk_i32 s2, 0x80
	v_lshlrev_b32_e32 v1, 2, v0
	v_lshl_add_u32 v17, v2, 2, v3
	v_subrev_co_u32_e64 v2, s[2:3], s2, v0
	v_or_b32_e32 v10, 0x800, v1
	v_lshl_add_u32 v18, v2, 2, v3
	s_waitcnt lgkmcnt(0)
	v_mov_b32_e32 v2, s15
	v_add_co_u32_e64 v1, s[4:5], s14, v1
	v_lshlrev_b32_e32 v9, 3, v0
	v_addc_co_u32_e64 v2, s[4:5], 0, v2, s[4:5]
	v_mov_b32_e32 v4, s13
	v_add_co_u32_e64 v3, s[4:5], s12, v9
	v_addc_co_u32_e64 v4, s[4:5], 0, v4, s[4:5]
	s_xor_b64 s[12:13], s[0:1], -1
	s_movk_i32 s0, 0xff
	v_add_u32_e32 v19, 0xffffff80, v9
	s_xor_b64 s[4:5], vcc, -1
	s_xor_b64 s[14:15], s[2:3], -1
	v_cmp_gt_u32_e64 s[0:1], s0, v0
	s_mov_b64 s[24:25], 0
	v_add_u32_e32 v20, 0xffffff00, v9
	v_add_u32_e32 v21, 0xfffffe00, v9
	;; [unrolled: 1-line block ×3, first 2 shown]
	v_add_u32_e32 v23, -8, v9
	v_add_u32_e32 v24, -16, v9
	v_subrev_u32_e32 v25, 32, v9
	v_subrev_u32_e32 v26, 64, v9
	s_branch .LBB8_6
.LBB8_5:                                ;   in Loop: Header=BB8_6 Depth=1
	s_or_b64 exec, exec, s[2:3]
	s_add_u32 s24, s24, 0x100
	v_add_co_u32_e32 v1, vcc, 0x400, v1
	v_mov_b32_e32 v5, s8
	s_addc_u32 s25, s25, 0
	v_addc_co_u32_e32 v2, vcc, 0, v2, vcc
	v_mov_b32_e32 v6, s9
	v_add_co_u32_e32 v3, vcc, 0x800, v3
	v_cmp_lt_i64_e64 s[2:3], s[24:25], v[5:6]
	v_addc_co_u32_e32 v4, vcc, 0, v4, vcc
	s_and_b64 vcc, exec, s[2:3]
	s_waitcnt vmcnt(0)
	s_barrier
	s_cbranch_vccz .LBB8_44
.LBB8_6:                                ; =>This Inner Loop Header: Depth=1
	v_mov_b32_e32 v6, s25
	v_add_co_u32_e32 v5, vcc, s24, v0
	v_addc_co_u32_e32 v6, vcc, 0, v6, vcc
	v_cmp_gt_i64_e32 vcc, s[8:9], v[5:6]
	v_mov_b32_e32 v5, -1
	v_mov_b32_e32 v6, -1
	v_mov_b32_e32 v7, 0
	s_and_saveexec_b64 s[2:3], vcc
	s_cbranch_execz .LBB8_8
; %bb.7:                                ;   in Loop: Header=BB8_6 Depth=1
	global_load_dwordx2 v[5:6], v[3:4], off
	global_load_dword v7, v[1:2], off
.LBB8_8:                                ;   in Loop: Header=BB8_6 Depth=1
	s_or_b64 exec, exec, s[2:3]
	s_waitcnt vmcnt(1)
	ds_write_b64 v9, v[5:6]
	s_waitcnt vmcnt(0)
	ds_write_b32 v10, v7
	v_mov_b32_e32 v5, 0
	v_mov_b32_e32 v6, 0
	s_waitcnt lgkmcnt(0)
	s_barrier
	s_and_saveexec_b64 s[2:3], s[10:11]
	s_cbranch_execz .LBB8_12
; %bb.9:                                ;   in Loop: Header=BB8_6 Depth=1
	ds_read2_b64 v[27:30], v23 offset1:1
	v_mov_b32_e32 v6, 0
	s_waitcnt lgkmcnt(0)
	v_cmp_eq_u64_e32 vcc, v[29:30], v[27:28]
	s_and_saveexec_b64 s[26:27], vcc
; %bb.10:                               ;   in Loop: Header=BB8_6 Depth=1
	ds_read_b32 v6, v11
; %bb.11:                               ;   in Loop: Header=BB8_6 Depth=1
	s_or_b64 exec, exec, s[26:27]
.LBB8_12:                               ;   in Loop: Header=BB8_6 Depth=1
	s_or_b64 exec, exec, s[2:3]
	s_waitcnt lgkmcnt(0)
	s_barrier
	ds_read_b32 v7, v10
	s_waitcnt lgkmcnt(0)
	v_add_f32_e32 v6, v6, v7
	ds_write_b32 v10, v6
	s_waitcnt lgkmcnt(0)
	s_barrier
	s_and_saveexec_b64 s[2:3], s[16:17]
	s_cbranch_execz .LBB8_16
; %bb.13:                               ;   in Loop: Header=BB8_6 Depth=1
	ds_read_b64 v[5:6], v9
	ds_read_b64 v[7:8], v24
	s_waitcnt lgkmcnt(0)
	v_cmp_eq_u64_e32 vcc, v[5:6], v[7:8]
	v_mov_b32_e32 v5, 0
	s_and_saveexec_b64 s[26:27], vcc
; %bb.14:                               ;   in Loop: Header=BB8_6 Depth=1
	ds_read_b32 v5, v12
; %bb.15:                               ;   in Loop: Header=BB8_6 Depth=1
	s_or_b64 exec, exec, s[26:27]
.LBB8_16:                               ;   in Loop: Header=BB8_6 Depth=1
	s_or_b64 exec, exec, s[2:3]
	s_waitcnt lgkmcnt(0)
	s_barrier
	ds_read_b32 v6, v10
	s_waitcnt lgkmcnt(0)
	v_add_f32_e32 v5, v5, v6
	ds_write_b32 v10, v5
	v_mov_b32_e32 v5, 0
	v_mov_b32_e32 v6, 0
	s_waitcnt lgkmcnt(0)
	s_barrier
	s_and_saveexec_b64 s[2:3], s[18:19]
	s_cbranch_execz .LBB8_20
; %bb.17:                               ;   in Loop: Header=BB8_6 Depth=1
	ds_read_b64 v[6:7], v9
	ds_read_b64 v[27:28], v25
	s_waitcnt lgkmcnt(0)
	v_cmp_eq_u64_e32 vcc, v[6:7], v[27:28]
	v_mov_b32_e32 v6, 0
	s_and_saveexec_b64 s[26:27], vcc
; %bb.18:                               ;   in Loop: Header=BB8_6 Depth=1
	ds_read_b32 v6, v13
; %bb.19:                               ;   in Loop: Header=BB8_6 Depth=1
	s_or_b64 exec, exec, s[26:27]
.LBB8_20:                               ;   in Loop: Header=BB8_6 Depth=1
	s_or_b64 exec, exec, s[2:3]
	s_waitcnt lgkmcnt(0)
	s_barrier
	ds_read_b32 v7, v10
	s_waitcnt lgkmcnt(0)
	v_add_f32_e32 v6, v6, v7
	ds_write_b32 v10, v6
	s_waitcnt lgkmcnt(0)
	s_barrier
	s_and_saveexec_b64 s[2:3], s[20:21]
	s_cbranch_execz .LBB8_24
; %bb.21:                               ;   in Loop: Header=BB8_6 Depth=1
	ds_read_b64 v[5:6], v9
	ds_read_b64 v[7:8], v26
	s_waitcnt lgkmcnt(0)
	v_cmp_eq_u64_e32 vcc, v[5:6], v[7:8]
	v_mov_b32_e32 v5, 0
	s_and_saveexec_b64 s[26:27], vcc
; %bb.22:                               ;   in Loop: Header=BB8_6 Depth=1
	ds_read_b32 v5, v14
; %bb.23:                               ;   in Loop: Header=BB8_6 Depth=1
	s_or_b64 exec, exec, s[26:27]
.LBB8_24:                               ;   in Loop: Header=BB8_6 Depth=1
	s_or_b64 exec, exec, s[2:3]
	s_waitcnt lgkmcnt(0)
	s_barrier
	ds_read_b32 v6, v10
	s_waitcnt lgkmcnt(0)
	v_add_f32_e32 v5, v5, v6
	ds_write_b32 v10, v5
	v_mov_b32_e32 v5, 0
	v_mov_b32_e32 v6, 0
	s_waitcnt lgkmcnt(0)
	s_barrier
	s_and_saveexec_b64 s[2:3], s[22:23]
	s_cbranch_execz .LBB8_28
; %bb.25:                               ;   in Loop: Header=BB8_6 Depth=1
	ds_read_b64 v[6:7], v9
	ds_read_b64 v[27:28], v19
	s_waitcnt lgkmcnt(0)
	v_cmp_eq_u64_e32 vcc, v[6:7], v[27:28]
	v_mov_b32_e32 v6, 0
	s_and_saveexec_b64 s[26:27], vcc
; %bb.26:                               ;   in Loop: Header=BB8_6 Depth=1
	ds_read_b32 v6, v15
; %bb.27:                               ;   in Loop: Header=BB8_6 Depth=1
	s_or_b64 exec, exec, s[26:27]
.LBB8_28:                               ;   in Loop: Header=BB8_6 Depth=1
	;; [unrolled: 48-line block ×3, first 2 shown]
	s_or_b64 exec, exec, s[2:3]
	s_waitcnt lgkmcnt(0)
	s_barrier
	ds_read_b32 v7, v10
	s_waitcnt lgkmcnt(0)
	v_add_f32_e32 v6, v6, v7
	ds_write_b32 v10, v6
	s_waitcnt lgkmcnt(0)
	s_barrier
	s_and_saveexec_b64 s[2:3], s[14:15]
	s_cbranch_execz .LBB8_40
; %bb.37:                               ;   in Loop: Header=BB8_6 Depth=1
	ds_read_b64 v[5:6], v9
	ds_read_b64 v[7:8], v22
	s_waitcnt lgkmcnt(0)
	v_cmp_eq_u64_e32 vcc, v[5:6], v[7:8]
	v_mov_b32_e32 v5, 0
	s_and_saveexec_b64 s[26:27], vcc
; %bb.38:                               ;   in Loop: Header=BB8_6 Depth=1
	ds_read_b32 v5, v18
; %bb.39:                               ;   in Loop: Header=BB8_6 Depth=1
	s_or_b64 exec, exec, s[26:27]
.LBB8_40:                               ;   in Loop: Header=BB8_6 Depth=1
	s_or_b64 exec, exec, s[2:3]
	s_waitcnt lgkmcnt(0)
	s_barrier
	ds_read_b32 v6, v10
	v_mov_b32_e32 v7, -1
	v_mov_b32_e32 v8, -1
	s_waitcnt lgkmcnt(0)
	v_add_f32_e32 v5, v5, v6
	ds_write_b32 v10, v5
	s_waitcnt lgkmcnt(0)
	s_barrier
	ds_read_b64 v[5:6], v9
	s_and_saveexec_b64 s[2:3], s[0:1]
; %bb.41:                               ;   in Loop: Header=BB8_6 Depth=1
	ds_read_b64 v[7:8], v9 offset:8
; %bb.42:                               ;   in Loop: Header=BB8_6 Depth=1
	s_or_b64 exec, exec, s[2:3]
	s_waitcnt lgkmcnt(0)
	v_cmp_ne_u64_e32 vcc, v[5:6], v[7:8]
	v_cmp_lt_i64_e64 s[2:3], -1, v[5:6]
	s_and_b64 s[26:27], s[2:3], vcc
	s_and_saveexec_b64 s[2:3], s[26:27]
	s_cbranch_execz .LBB8_5
; %bb.43:                               ;   in Loop: Header=BB8_6 Depth=1
	v_lshlrev_b64 v[5:6], 2, v[5:6]
	v_mov_b32_e32 v7, s7
	v_add_co_u32_e32 v5, vcc, s6, v5
	v_addc_co_u32_e32 v6, vcc, v7, v6, vcc
	global_load_dword v7, v[5:6], off
	ds_read_b32 v8, v10
	s_waitcnt vmcnt(0) lgkmcnt(0)
	v_add_f32_e32 v7, v7, v8
	global_store_dword v[5:6], v7, off
	s_branch .LBB8_5
.LBB8_44:
	s_endpgm
	.section	.rodata,"a",@progbits
	.p2align	6, 0x0
	.amdhsa_kernel _ZN9rocsparseL29coomvn_segmented_loops_reduceILj256ElffEEvT0_NS_24const_host_device_scalarIT2_EEPKS1_PKS3_PT1_b
		.amdhsa_group_segment_fixed_size 3072
		.amdhsa_private_segment_fixed_size 0
		.amdhsa_kernarg_size 44
		.amdhsa_user_sgpr_count 6
		.amdhsa_user_sgpr_private_segment_buffer 1
		.amdhsa_user_sgpr_dispatch_ptr 0
		.amdhsa_user_sgpr_queue_ptr 0
		.amdhsa_user_sgpr_kernarg_segment_ptr 1
		.amdhsa_user_sgpr_dispatch_id 0
		.amdhsa_user_sgpr_flat_scratch_init 0
		.amdhsa_user_sgpr_private_segment_size 0
		.amdhsa_uses_dynamic_stack 0
		.amdhsa_system_sgpr_private_segment_wavefront_offset 0
		.amdhsa_system_sgpr_workgroup_id_x 1
		.amdhsa_system_sgpr_workgroup_id_y 0
		.amdhsa_system_sgpr_workgroup_id_z 0
		.amdhsa_system_sgpr_workgroup_info 0
		.amdhsa_system_vgpr_workitem_id 0
		.amdhsa_next_free_vgpr 31
		.amdhsa_next_free_sgpr 28
		.amdhsa_reserve_vcc 1
		.amdhsa_reserve_flat_scratch 0
		.amdhsa_float_round_mode_32 0
		.amdhsa_float_round_mode_16_64 0
		.amdhsa_float_denorm_mode_32 3
		.amdhsa_float_denorm_mode_16_64 3
		.amdhsa_dx10_clamp 1
		.amdhsa_ieee_mode 1
		.amdhsa_fp16_overflow 0
		.amdhsa_exception_fp_ieee_invalid_op 0
		.amdhsa_exception_fp_denorm_src 0
		.amdhsa_exception_fp_ieee_div_zero 0
		.amdhsa_exception_fp_ieee_overflow 0
		.amdhsa_exception_fp_ieee_underflow 0
		.amdhsa_exception_fp_ieee_inexact 0
		.amdhsa_exception_int_div_zero 0
	.end_amdhsa_kernel
	.section	.text._ZN9rocsparseL29coomvn_segmented_loops_reduceILj256ElffEEvT0_NS_24const_host_device_scalarIT2_EEPKS1_PKS3_PT1_b,"axG",@progbits,_ZN9rocsparseL29coomvn_segmented_loops_reduceILj256ElffEEvT0_NS_24const_host_device_scalarIT2_EEPKS1_PKS3_PT1_b,comdat
.Lfunc_end8:
	.size	_ZN9rocsparseL29coomvn_segmented_loops_reduceILj256ElffEEvT0_NS_24const_host_device_scalarIT2_EEPKS1_PKS3_PT1_b, .Lfunc_end8-_ZN9rocsparseL29coomvn_segmented_loops_reduceILj256ElffEEvT0_NS_24const_host_device_scalarIT2_EEPKS1_PKS3_PT1_b
                                        ; -- End function
	.set _ZN9rocsparseL29coomvn_segmented_loops_reduceILj256ElffEEvT0_NS_24const_host_device_scalarIT2_EEPKS1_PKS3_PT1_b.num_vgpr, 31
	.set _ZN9rocsparseL29coomvn_segmented_loops_reduceILj256ElffEEvT0_NS_24const_host_device_scalarIT2_EEPKS1_PKS3_PT1_b.num_agpr, 0
	.set _ZN9rocsparseL29coomvn_segmented_loops_reduceILj256ElffEEvT0_NS_24const_host_device_scalarIT2_EEPKS1_PKS3_PT1_b.numbered_sgpr, 28
	.set _ZN9rocsparseL29coomvn_segmented_loops_reduceILj256ElffEEvT0_NS_24const_host_device_scalarIT2_EEPKS1_PKS3_PT1_b.num_named_barrier, 0
	.set _ZN9rocsparseL29coomvn_segmented_loops_reduceILj256ElffEEvT0_NS_24const_host_device_scalarIT2_EEPKS1_PKS3_PT1_b.private_seg_size, 0
	.set _ZN9rocsparseL29coomvn_segmented_loops_reduceILj256ElffEEvT0_NS_24const_host_device_scalarIT2_EEPKS1_PKS3_PT1_b.uses_vcc, 1
	.set _ZN9rocsparseL29coomvn_segmented_loops_reduceILj256ElffEEvT0_NS_24const_host_device_scalarIT2_EEPKS1_PKS3_PT1_b.uses_flat_scratch, 0
	.set _ZN9rocsparseL29coomvn_segmented_loops_reduceILj256ElffEEvT0_NS_24const_host_device_scalarIT2_EEPKS1_PKS3_PT1_b.has_dyn_sized_stack, 0
	.set _ZN9rocsparseL29coomvn_segmented_loops_reduceILj256ElffEEvT0_NS_24const_host_device_scalarIT2_EEPKS1_PKS3_PT1_b.has_recursion, 0
	.set _ZN9rocsparseL29coomvn_segmented_loops_reduceILj256ElffEEvT0_NS_24const_host_device_scalarIT2_EEPKS1_PKS3_PT1_b.has_indirect_call, 0
	.section	.AMDGPU.csdata,"",@progbits
; Kernel info:
; codeLenInByte = 1444
; TotalNumSgprs: 32
; NumVgprs: 31
; ScratchSize: 0
; MemoryBound: 0
; FloatMode: 240
; IeeeMode: 1
; LDSByteSize: 3072 bytes/workgroup (compile time only)
; SGPRBlocks: 3
; VGPRBlocks: 7
; NumSGPRsForWavesPerEU: 32
; NumVGPRsForWavesPerEU: 31
; Occupancy: 8
; WaveLimiterHint : 0
; COMPUTE_PGM_RSRC2:SCRATCH_EN: 0
; COMPUTE_PGM_RSRC2:USER_SGPR: 6
; COMPUTE_PGM_RSRC2:TRAP_HANDLER: 0
; COMPUTE_PGM_RSRC2:TGID_X_EN: 1
; COMPUTE_PGM_RSRC2:TGID_Y_EN: 0
; COMPUTE_PGM_RSRC2:TGID_Z_EN: 0
; COMPUTE_PGM_RSRC2:TIDIG_COMP_CNT: 0
	.section	.text._ZN9rocsparseL13coomvt_kernelILj1024ElffffEEv20rocsparse_operation_lNS_24const_host_device_scalarIT4_EEPKT0_S7_PKT1_PKT2_PT3_21rocsparse_index_base_b,"axG",@progbits,_ZN9rocsparseL13coomvt_kernelILj1024ElffffEEv20rocsparse_operation_lNS_24const_host_device_scalarIT4_EEPKT0_S7_PKT1_PKT2_PT3_21rocsparse_index_base_b,comdat
	.globl	_ZN9rocsparseL13coomvt_kernelILj1024ElffffEEv20rocsparse_operation_lNS_24const_host_device_scalarIT4_EEPKT0_S7_PKT1_PKT2_PT3_21rocsparse_index_base_b ; -- Begin function _ZN9rocsparseL13coomvt_kernelILj1024ElffffEEv20rocsparse_operation_lNS_24const_host_device_scalarIT4_EEPKT0_S7_PKT1_PKT2_PT3_21rocsparse_index_base_b
	.p2align	8
	.type	_ZN9rocsparseL13coomvt_kernelILj1024ElffffEEv20rocsparse_operation_lNS_24const_host_device_scalarIT4_EEPKT0_S7_PKT1_PKT2_PT3_21rocsparse_index_base_b,@function
_ZN9rocsparseL13coomvt_kernelILj1024ElffffEEv20rocsparse_operation_lNS_24const_host_device_scalarIT4_EEPKT0_S7_PKT1_PKT2_PT3_21rocsparse_index_base_b: ; @_ZN9rocsparseL13coomvt_kernelILj1024ElffffEEv20rocsparse_operation_lNS_24const_host_device_scalarIT4_EEPKT0_S7_PKT1_PKT2_PT3_21rocsparse_index_base_b
; %bb.0:
	s_load_dwordx2 s[16:17], s[4:5], 0x40
	s_load_dwordx4 s[0:3], s[4:5], 0x8
	s_waitcnt lgkmcnt(0)
	s_bitcmp1_b32 s17, 0
	s_cselect_b64 s[8:9], -1, 0
	s_and_b64 vcc, exec, s[8:9]
	s_cbranch_vccnz .LBB9_2
; %bb.1:
	s_load_dword s2, s[2:3], 0x0
.LBB9_2:
	s_waitcnt lgkmcnt(0)
	v_cmp_eq_f32_e64 s[8:9], s2, 0
	s_and_b64 vcc, exec, s[8:9]
	s_cbranch_vccnz .LBB9_6
; %bb.3:
	s_load_dword s3, s[4:5], 0x54
	v_mov_b32_e32 v1, 0
	s_waitcnt lgkmcnt(0)
	s_and_b32 s3, s3, 0xffff
	s_mul_i32 s6, s6, s3
	v_add_u32_e32 v0, s6, v0
	v_cmp_gt_i64_e32 vcc, s[0:1], v[0:1]
	s_and_saveexec_b64 s[0:1], vcc
	s_cbranch_execz .LBB9_6
; %bb.4:
	s_load_dwordx8 s[8:15], s[4:5], 0x18
	v_lshlrev_b64 v[2:3], 3, v[0:1]
	v_lshlrev_b64 v[0:1], 2, v[0:1]
	s_load_dwordx2 s[0:1], s[4:5], 0x38
	s_waitcnt lgkmcnt(0)
	v_mov_b32_e32 v5, s9
	v_add_co_u32_e32 v4, vcc, s8, v2
	v_addc_co_u32_e32 v5, vcc, v5, v3, vcc
	global_load_dwordx2 v[4:5], v[4:5], off
	v_mov_b32_e32 v6, s11
	v_add_co_u32_e32 v2, vcc, s10, v2
	v_addc_co_u32_e32 v3, vcc, v6, v3, vcc
	global_load_dwordx2 v[2:3], v[2:3], off
	v_mov_b32_e32 v6, s13
	v_add_co_u32_e32 v0, vcc, s12, v0
	v_addc_co_u32_e32 v1, vcc, v6, v1, vcc
	global_load_dword v6, v[0:1], off
	v_mov_b32_e32 v8, s15
	v_mov_b32_e32 v7, s1
	s_waitcnt vmcnt(2)
	v_subrev_co_u32_e32 v0, vcc, s16, v4
	v_subbrev_co_u32_e32 v1, vcc, 0, v5, vcc
	v_lshlrev_b64 v[0:1], 2, v[0:1]
	s_waitcnt vmcnt(1)
	v_subrev_co_u32_e32 v2, vcc, s16, v2
	v_subbrev_co_u32_e32 v3, vcc, 0, v3, vcc
	v_lshlrev_b64 v[2:3], 2, v[2:3]
	v_add_co_u32_e32 v0, vcc, s14, v0
	v_addc_co_u32_e32 v1, vcc, v8, v1, vcc
	global_load_dword v4, v[0:1], off
	v_add_co_u32_e32 v0, vcc, s0, v2
	v_addc_co_u32_e32 v1, vcc, v7, v3, vcc
	global_load_dword v3, v[0:1], off
	s_waitcnt vmcnt(2)
	v_mul_f32_e32 v2, s2, v6
	s_mov_b64 s[0:1], 0
	s_waitcnt vmcnt(1)
	v_mul_f32_e32 v4, v2, v4
.LBB9_5:                                ; =>This Inner Loop Header: Depth=1
	s_waitcnt vmcnt(0)
	v_add_f32_e32 v2, v3, v4
	global_atomic_cmpswap v2, v[0:1], v[2:3], off glc
	s_waitcnt vmcnt(0)
	v_cmp_eq_u32_e32 vcc, v2, v3
	s_or_b64 s[0:1], vcc, s[0:1]
	v_mov_b32_e32 v3, v2
	s_andn2_b64 exec, exec, s[0:1]
	s_cbranch_execnz .LBB9_5
.LBB9_6:
	s_endpgm
	.section	.rodata,"a",@progbits
	.p2align	6, 0x0
	.amdhsa_kernel _ZN9rocsparseL13coomvt_kernelILj1024ElffffEEv20rocsparse_operation_lNS_24const_host_device_scalarIT4_EEPKT0_S7_PKT1_PKT2_PT3_21rocsparse_index_base_b
		.amdhsa_group_segment_fixed_size 0
		.amdhsa_private_segment_fixed_size 0
		.amdhsa_kernarg_size 328
		.amdhsa_user_sgpr_count 6
		.amdhsa_user_sgpr_private_segment_buffer 1
		.amdhsa_user_sgpr_dispatch_ptr 0
		.amdhsa_user_sgpr_queue_ptr 0
		.amdhsa_user_sgpr_kernarg_segment_ptr 1
		.amdhsa_user_sgpr_dispatch_id 0
		.amdhsa_user_sgpr_flat_scratch_init 0
		.amdhsa_user_sgpr_private_segment_size 0
		.amdhsa_uses_dynamic_stack 0
		.amdhsa_system_sgpr_private_segment_wavefront_offset 0
		.amdhsa_system_sgpr_workgroup_id_x 1
		.amdhsa_system_sgpr_workgroup_id_y 0
		.amdhsa_system_sgpr_workgroup_id_z 0
		.amdhsa_system_sgpr_workgroup_info 0
		.amdhsa_system_vgpr_workitem_id 0
		.amdhsa_next_free_vgpr 9
		.amdhsa_next_free_sgpr 18
		.amdhsa_reserve_vcc 1
		.amdhsa_reserve_flat_scratch 0
		.amdhsa_float_round_mode_32 0
		.amdhsa_float_round_mode_16_64 0
		.amdhsa_float_denorm_mode_32 3
		.amdhsa_float_denorm_mode_16_64 3
		.amdhsa_dx10_clamp 1
		.amdhsa_ieee_mode 1
		.amdhsa_fp16_overflow 0
		.amdhsa_exception_fp_ieee_invalid_op 0
		.amdhsa_exception_fp_denorm_src 0
		.amdhsa_exception_fp_ieee_div_zero 0
		.amdhsa_exception_fp_ieee_overflow 0
		.amdhsa_exception_fp_ieee_underflow 0
		.amdhsa_exception_fp_ieee_inexact 0
		.amdhsa_exception_int_div_zero 0
	.end_amdhsa_kernel
	.section	.text._ZN9rocsparseL13coomvt_kernelILj1024ElffffEEv20rocsparse_operation_lNS_24const_host_device_scalarIT4_EEPKT0_S7_PKT1_PKT2_PT3_21rocsparse_index_base_b,"axG",@progbits,_ZN9rocsparseL13coomvt_kernelILj1024ElffffEEv20rocsparse_operation_lNS_24const_host_device_scalarIT4_EEPKT0_S7_PKT1_PKT2_PT3_21rocsparse_index_base_b,comdat
.Lfunc_end9:
	.size	_ZN9rocsparseL13coomvt_kernelILj1024ElffffEEv20rocsparse_operation_lNS_24const_host_device_scalarIT4_EEPKT0_S7_PKT1_PKT2_PT3_21rocsparse_index_base_b, .Lfunc_end9-_ZN9rocsparseL13coomvt_kernelILj1024ElffffEEv20rocsparse_operation_lNS_24const_host_device_scalarIT4_EEPKT0_S7_PKT1_PKT2_PT3_21rocsparse_index_base_b
                                        ; -- End function
	.set _ZN9rocsparseL13coomvt_kernelILj1024ElffffEEv20rocsparse_operation_lNS_24const_host_device_scalarIT4_EEPKT0_S7_PKT1_PKT2_PT3_21rocsparse_index_base_b.num_vgpr, 9
	.set _ZN9rocsparseL13coomvt_kernelILj1024ElffffEEv20rocsparse_operation_lNS_24const_host_device_scalarIT4_EEPKT0_S7_PKT1_PKT2_PT3_21rocsparse_index_base_b.num_agpr, 0
	.set _ZN9rocsparseL13coomvt_kernelILj1024ElffffEEv20rocsparse_operation_lNS_24const_host_device_scalarIT4_EEPKT0_S7_PKT1_PKT2_PT3_21rocsparse_index_base_b.numbered_sgpr, 18
	.set _ZN9rocsparseL13coomvt_kernelILj1024ElffffEEv20rocsparse_operation_lNS_24const_host_device_scalarIT4_EEPKT0_S7_PKT1_PKT2_PT3_21rocsparse_index_base_b.num_named_barrier, 0
	.set _ZN9rocsparseL13coomvt_kernelILj1024ElffffEEv20rocsparse_operation_lNS_24const_host_device_scalarIT4_EEPKT0_S7_PKT1_PKT2_PT3_21rocsparse_index_base_b.private_seg_size, 0
	.set _ZN9rocsparseL13coomvt_kernelILj1024ElffffEEv20rocsparse_operation_lNS_24const_host_device_scalarIT4_EEPKT0_S7_PKT1_PKT2_PT3_21rocsparse_index_base_b.uses_vcc, 1
	.set _ZN9rocsparseL13coomvt_kernelILj1024ElffffEEv20rocsparse_operation_lNS_24const_host_device_scalarIT4_EEPKT0_S7_PKT1_PKT2_PT3_21rocsparse_index_base_b.uses_flat_scratch, 0
	.set _ZN9rocsparseL13coomvt_kernelILj1024ElffffEEv20rocsparse_operation_lNS_24const_host_device_scalarIT4_EEPKT0_S7_PKT1_PKT2_PT3_21rocsparse_index_base_b.has_dyn_sized_stack, 0
	.set _ZN9rocsparseL13coomvt_kernelILj1024ElffffEEv20rocsparse_operation_lNS_24const_host_device_scalarIT4_EEPKT0_S7_PKT1_PKT2_PT3_21rocsparse_index_base_b.has_recursion, 0
	.set _ZN9rocsparseL13coomvt_kernelILj1024ElffffEEv20rocsparse_operation_lNS_24const_host_device_scalarIT4_EEPKT0_S7_PKT1_PKT2_PT3_21rocsparse_index_base_b.has_indirect_call, 0
	.section	.AMDGPU.csdata,"",@progbits
; Kernel info:
; codeLenInByte = 348
; TotalNumSgprs: 22
; NumVgprs: 9
; ScratchSize: 0
; MemoryBound: 0
; FloatMode: 240
; IeeeMode: 1
; LDSByteSize: 0 bytes/workgroup (compile time only)
; SGPRBlocks: 2
; VGPRBlocks: 2
; NumSGPRsForWavesPerEU: 22
; NumVGPRsForWavesPerEU: 9
; Occupancy: 10
; WaveLimiterHint : 1
; COMPUTE_PGM_RSRC2:SCRATCH_EN: 0
; COMPUTE_PGM_RSRC2:USER_SGPR: 6
; COMPUTE_PGM_RSRC2:TRAP_HANDLER: 0
; COMPUTE_PGM_RSRC2:TGID_X_EN: 1
; COMPUTE_PGM_RSRC2:TGID_Y_EN: 0
; COMPUTE_PGM_RSRC2:TGID_Z_EN: 0
; COMPUTE_PGM_RSRC2:TIDIG_COMP_CNT: 0
	.section	.text._ZN9rocsparseL19coomvn_atomic_loopsILj256ELj1ElffffEEvlNS_24const_host_device_scalarIT5_EEPKT1_S6_PKT2_PKT3_PT4_21rocsparse_index_base_b,"axG",@progbits,_ZN9rocsparseL19coomvn_atomic_loopsILj256ELj1ElffffEEvlNS_24const_host_device_scalarIT5_EEPKT1_S6_PKT2_PKT3_PT4_21rocsparse_index_base_b,comdat
	.globl	_ZN9rocsparseL19coomvn_atomic_loopsILj256ELj1ElffffEEvlNS_24const_host_device_scalarIT5_EEPKT1_S6_PKT2_PKT3_PT4_21rocsparse_index_base_b ; -- Begin function _ZN9rocsparseL19coomvn_atomic_loopsILj256ELj1ElffffEEvlNS_24const_host_device_scalarIT5_EEPKT1_S6_PKT2_PKT3_PT4_21rocsparse_index_base_b
	.p2align	8
	.type	_ZN9rocsparseL19coomvn_atomic_loopsILj256ELj1ElffffEEvlNS_24const_host_device_scalarIT5_EEPKT1_S6_PKT2_PKT3_PT4_21rocsparse_index_base_b,@function
_ZN9rocsparseL19coomvn_atomic_loopsILj256ELj1ElffffEEvlNS_24const_host_device_scalarIT5_EEPKT1_S6_PKT2_PKT3_PT4_21rocsparse_index_base_b: ; @_ZN9rocsparseL19coomvn_atomic_loopsILj256ELj1ElffffEEvlNS_24const_host_device_scalarIT5_EEPKT1_S6_PKT2_PKT3_PT4_21rocsparse_index_base_b
; %bb.0:
	s_load_dwordx2 s[16:17], s[4:5], 0x38
	s_load_dwordx4 s[0:3], s[4:5], 0x0
	s_waitcnt lgkmcnt(0)
	s_bitcmp1_b32 s17, 0
	s_cselect_b64 s[8:9], -1, 0
	s_and_b64 vcc, exec, s[8:9]
	s_cbranch_vccnz .LBB10_2
; %bb.1:
	s_load_dword s2, s[2:3], 0x0
.LBB10_2:
	s_waitcnt lgkmcnt(0)
	v_cmp_eq_f32_e64 s[8:9], s2, 0
	s_and_b64 vcc, exec, s[8:9]
	s_cbranch_vccnz .LBB10_44
; %bb.3:
	v_lshl_or_b32 v1, s6, 8, v0
	v_mov_b32_e32 v2, 0
	v_cmp_gt_i64_e32 vcc, s[0:1], v[1:2]
	v_mov_b32_e32 v3, -1
	v_mov_b32_e32 v4, -1
	s_and_saveexec_b64 s[0:1], vcc
	s_cbranch_execz .LBB10_5
; %bb.4:
	s_load_dwordx8 s[8:15], s[4:5], 0x10
	v_lshlrev_b64 v[3:4], 3, v[1:2]
	v_lshlrev_b64 v[1:2], 2, v[1:2]
	s_waitcnt lgkmcnt(0)
	v_mov_b32_e32 v6, s11
	v_add_co_u32_e32 v5, vcc, s10, v3
	v_addc_co_u32_e32 v6, vcc, v6, v4, vcc
	global_load_dwordx2 v[5:6], v[5:6], off glc slc
	v_mov_b32_e32 v7, s9
	v_add_co_u32_e32 v3, vcc, s8, v3
	v_addc_co_u32_e32 v4, vcc, v7, v4, vcc
	v_mov_b32_e32 v8, s13
	v_add_co_u32_e32 v1, vcc, s12, v1
	v_addc_co_u32_e32 v2, vcc, v8, v2, vcc
	global_load_dwordx2 v[7:8], v[3:4], off glc slc
	global_load_dword v10, v[1:2], off glc slc
	v_mov_b32_e32 v9, s15
	s_waitcnt vmcnt(2)
	v_subrev_co_u32_e32 v1, vcc, s16, v5
	v_subbrev_co_u32_e32 v2, vcc, 0, v6, vcc
	v_lshlrev_b64 v[1:2], 2, v[1:2]
	v_add_co_u32_e32 v1, vcc, s14, v1
	v_addc_co_u32_e32 v2, vcc, v9, v2, vcc
	global_load_dword v1, v[1:2], off
	s_waitcnt vmcnt(2)
	v_subrev_co_u32_e32 v3, vcc, s16, v7
	v_subbrev_co_u32_e32 v4, vcc, 0, v8, vcc
	s_waitcnt vmcnt(0)
	v_mul_f32_e32 v2, v10, v1
.LBB10_5:
	s_or_b64 exec, exec, s[0:1]
	v_lshlrev_b32_e32 v6, 2, v0
	v_lshlrev_b32_e32 v1, 3, v0
	v_or_b32_e32 v5, 0x800, v6
	v_cmp_ne_u32_e32 vcc, 0, v0
	ds_write_b64 v1, v[3:4]
	ds_write_b32 v6, v2 offset:2048
	s_waitcnt lgkmcnt(0)
	s_barrier
	s_and_saveexec_b64 s[0:1], vcc
	s_cbranch_execz .LBB10_9
; %bb.6:
	v_add_u32_e32 v6, -8, v1
	ds_read_b64 v[6:7], v6
	s_waitcnt lgkmcnt(0)
	v_cmp_eq_u64_e32 vcc, v[3:4], v[6:7]
	s_and_saveexec_b64 s[6:7], vcc
	s_cbranch_execz .LBB10_8
; %bb.7:
	v_add_u32_e32 v6, -4, v5
	ds_read_b32 v6, v6
	s_waitcnt lgkmcnt(0)
	v_add_f32_e32 v2, v2, v6
.LBB10_8:
	s_or_b64 exec, exec, s[6:7]
.LBB10_9:
	s_or_b64 exec, exec, s[0:1]
	v_cmp_lt_u32_e32 vcc, 1, v0
	s_barrier
	ds_write_b32 v5, v2
	s_waitcnt lgkmcnt(0)
	s_barrier
	s_and_saveexec_b64 s[0:1], vcc
	s_cbranch_execz .LBB10_13
; %bb.10:
	v_add_u32_e32 v6, -16, v1
	ds_read_b64 v[6:7], v6
	s_waitcnt lgkmcnt(0)
	v_cmp_eq_u64_e32 vcc, v[3:4], v[6:7]
	s_and_saveexec_b64 s[6:7], vcc
	s_cbranch_execz .LBB10_12
; %bb.11:
	v_add_u32_e32 v6, -8, v5
	ds_read_b32 v6, v6
	s_waitcnt lgkmcnt(0)
	v_add_f32_e32 v2, v2, v6
.LBB10_12:
	s_or_b64 exec, exec, s[6:7]
.LBB10_13:
	s_or_b64 exec, exec, s[0:1]
	v_cmp_lt_u32_e32 vcc, 3, v0
	s_barrier
	ds_write_b32 v5, v2
	s_waitcnt lgkmcnt(0)
	s_barrier
	s_and_saveexec_b64 s[0:1], vcc
	s_cbranch_execz .LBB10_17
; %bb.14:
	v_subrev_u32_e32 v6, 32, v1
	ds_read_b64 v[6:7], v6
	s_waitcnt lgkmcnt(0)
	v_cmp_eq_u64_e32 vcc, v[3:4], v[6:7]
	s_and_saveexec_b64 s[6:7], vcc
	s_cbranch_execz .LBB10_16
; %bb.15:
	v_add_u32_e32 v6, -16, v5
	ds_read_b32 v6, v6
	s_waitcnt lgkmcnt(0)
	v_add_f32_e32 v2, v2, v6
.LBB10_16:
	s_or_b64 exec, exec, s[6:7]
.LBB10_17:
	s_or_b64 exec, exec, s[0:1]
	v_cmp_lt_u32_e32 vcc, 7, v0
	s_barrier
	ds_write_b32 v5, v2
	s_waitcnt lgkmcnt(0)
	s_barrier
	s_and_saveexec_b64 s[0:1], vcc
	s_cbranch_execz .LBB10_21
; %bb.18:
	v_subrev_u32_e32 v6, 64, v1
	ds_read_b64 v[6:7], v6
	s_waitcnt lgkmcnt(0)
	v_cmp_eq_u64_e32 vcc, v[3:4], v[6:7]
	s_and_saveexec_b64 s[6:7], vcc
	s_cbranch_execz .LBB10_20
; %bb.19:
	v_subrev_u32_e32 v6, 32, v5
	ds_read_b32 v6, v6
	s_waitcnt lgkmcnt(0)
	v_add_f32_e32 v2, v2, v6
.LBB10_20:
	s_or_b64 exec, exec, s[6:7]
.LBB10_21:
	s_or_b64 exec, exec, s[0:1]
	v_cmp_lt_u32_e32 vcc, 15, v0
	s_barrier
	ds_write_b32 v5, v2
	s_waitcnt lgkmcnt(0)
	s_barrier
	s_and_saveexec_b64 s[0:1], vcc
	s_cbranch_execz .LBB10_25
; %bb.22:
	v_add_u32_e32 v6, 0xffffff80, v1
	ds_read_b64 v[6:7], v6
	s_waitcnt lgkmcnt(0)
	v_cmp_eq_u64_e32 vcc, v[3:4], v[6:7]
	s_and_saveexec_b64 s[6:7], vcc
	s_cbranch_execz .LBB10_24
; %bb.23:
	v_subrev_u32_e32 v6, 64, v5
	ds_read_b32 v6, v6
	s_waitcnt lgkmcnt(0)
	v_add_f32_e32 v2, v2, v6
.LBB10_24:
	s_or_b64 exec, exec, s[6:7]
.LBB10_25:
	s_or_b64 exec, exec, s[0:1]
	v_cmp_lt_u32_e32 vcc, 31, v0
	s_barrier
	ds_write_b32 v5, v2
	s_waitcnt lgkmcnt(0)
	s_barrier
	s_and_saveexec_b64 s[0:1], vcc
	s_cbranch_execz .LBB10_29
; %bb.26:
	v_add_u32_e32 v6, 0xffffff00, v1
	ds_read_b64 v[6:7], v6
	s_waitcnt lgkmcnt(0)
	v_cmp_eq_u64_e32 vcc, v[3:4], v[6:7]
	s_and_saveexec_b64 s[6:7], vcc
	s_cbranch_execz .LBB10_28
; %bb.27:
	v_add_u32_e32 v6, 0xffffff80, v5
	ds_read_b32 v6, v6
	s_waitcnt lgkmcnt(0)
	v_add_f32_e32 v2, v2, v6
.LBB10_28:
	s_or_b64 exec, exec, s[6:7]
.LBB10_29:
	s_or_b64 exec, exec, s[0:1]
	v_cmp_lt_u32_e32 vcc, 63, v0
	s_barrier
	ds_write_b32 v5, v2
	s_waitcnt lgkmcnt(0)
	s_barrier
	s_and_saveexec_b64 s[0:1], vcc
	s_cbranch_execz .LBB10_33
; %bb.30:
	v_add_u32_e32 v6, 0xfffffe00, v1
	ds_read_b64 v[6:7], v6
	s_waitcnt lgkmcnt(0)
	v_cmp_eq_u64_e32 vcc, v[3:4], v[6:7]
	s_and_saveexec_b64 s[6:7], vcc
	s_cbranch_execz .LBB10_32
; %bb.31:
	v_add_u32_e32 v6, 0xffffff00, v5
	ds_read_b32 v6, v6
	s_waitcnt lgkmcnt(0)
	v_add_f32_e32 v2, v2, v6
.LBB10_32:
	s_or_b64 exec, exec, s[6:7]
.LBB10_33:
	s_or_b64 exec, exec, s[0:1]
	s_load_dwordx2 s[4:5], s[4:5], 0x30
	s_movk_i32 s0, 0x7f
	v_cmp_lt_u32_e32 vcc, s0, v0
	s_waitcnt lgkmcnt(0)
	s_barrier
	ds_write_b32 v5, v2
	s_waitcnt lgkmcnt(0)
	s_barrier
	s_and_saveexec_b64 s[0:1], vcc
	s_cbranch_execz .LBB10_37
; %bb.34:
	v_add_u32_e32 v6, 0xfffffc00, v1
	ds_read_b64 v[6:7], v6
	s_waitcnt lgkmcnt(0)
	v_cmp_eq_u64_e32 vcc, v[3:4], v[6:7]
	s_and_saveexec_b64 s[6:7], vcc
	s_cbranch_execz .LBB10_36
; %bb.35:
	v_add_u32_e32 v6, 0xfffffe00, v5
	ds_read_b32 v6, v6
	s_waitcnt lgkmcnt(0)
	v_add_f32_e32 v2, v2, v6
.LBB10_36:
	s_or_b64 exec, exec, s[6:7]
.LBB10_37:
	s_or_b64 exec, exec, s[0:1]
	s_movk_i32 s3, 0xff
	v_cmp_gt_u32_e32 vcc, s3, v0
	s_barrier
	ds_write_b32 v5, v2
	s_waitcnt lgkmcnt(0)
	s_barrier
	s_and_saveexec_b64 s[6:7], vcc
	s_cbranch_execz .LBB10_41
; %bb.38:
	ds_read_b64 v[5:6], v1 offset:8
	v_cmp_lt_i64_e64 s[0:1], -1, v[3:4]
	s_waitcnt lgkmcnt(0)
	v_cmp_ne_u64_e32 vcc, v[3:4], v[5:6]
	s_and_b64 s[0:1], s[0:1], vcc
	s_and_b64 exec, exec, s[0:1]
	s_cbranch_execz .LBB10_41
; %bb.39:
	v_lshlrev_b64 v[5:6], 2, v[3:4]
	v_mov_b32_e32 v1, s5
	v_add_co_u32_e32 v5, vcc, s4, v5
	v_addc_co_u32_e32 v6, vcc, v1, v6, vcc
	global_load_dword v8, v[5:6], off
	v_mul_f32_e32 v1, s2, v2
	s_mov_b64 s[0:1], 0
.LBB10_40:                              ; =>This Inner Loop Header: Depth=1
	s_waitcnt vmcnt(0)
	v_add_f32_e32 v7, v8, v1
	global_atomic_cmpswap v7, v[5:6], v[7:8], off glc
	s_waitcnt vmcnt(0)
	v_cmp_eq_u32_e32 vcc, v7, v8
	s_or_b64 s[0:1], vcc, s[0:1]
	v_mov_b32_e32 v8, v7
	s_andn2_b64 exec, exec, s[0:1]
	s_cbranch_execnz .LBB10_40
.LBB10_41:
	s_or_b64 exec, exec, s[6:7]
	v_cmp_lt_i64_e32 vcc, -1, v[3:4]
	v_cmp_eq_u32_e64 s[0:1], s3, v0
	s_and_b64 s[0:1], s[0:1], vcc
	s_and_saveexec_b64 s[6:7], s[0:1]
	s_cbranch_execz .LBB10_44
; %bb.42:
	v_lshlrev_b64 v[0:1], 2, v[3:4]
	v_mov_b32_e32 v3, s5
	v_add_co_u32_e32 v0, vcc, s4, v0
	v_addc_co_u32_e32 v1, vcc, v3, v1, vcc
	global_load_dword v3, v[0:1], off
	v_mul_f32_e32 v4, s2, v2
	s_mov_b64 s[0:1], 0
.LBB10_43:                              ; =>This Inner Loop Header: Depth=1
	s_waitcnt vmcnt(0)
	v_add_f32_e32 v2, v3, v4
	global_atomic_cmpswap v2, v[0:1], v[2:3], off glc
	s_waitcnt vmcnt(0)
	v_cmp_eq_u32_e32 vcc, v2, v3
	s_or_b64 s[0:1], vcc, s[0:1]
	v_mov_b32_e32 v3, v2
	s_andn2_b64 exec, exec, s[0:1]
	s_cbranch_execnz .LBB10_43
.LBB10_44:
	s_endpgm
	.section	.rodata,"a",@progbits
	.p2align	6, 0x0
	.amdhsa_kernel _ZN9rocsparseL19coomvn_atomic_loopsILj256ELj1ElffffEEvlNS_24const_host_device_scalarIT5_EEPKT1_S6_PKT2_PKT3_PT4_21rocsparse_index_base_b
		.amdhsa_group_segment_fixed_size 3072
		.amdhsa_private_segment_fixed_size 0
		.amdhsa_kernarg_size 64
		.amdhsa_user_sgpr_count 6
		.amdhsa_user_sgpr_private_segment_buffer 1
		.amdhsa_user_sgpr_dispatch_ptr 0
		.amdhsa_user_sgpr_queue_ptr 0
		.amdhsa_user_sgpr_kernarg_segment_ptr 1
		.amdhsa_user_sgpr_dispatch_id 0
		.amdhsa_user_sgpr_flat_scratch_init 0
		.amdhsa_user_sgpr_private_segment_size 0
		.amdhsa_uses_dynamic_stack 0
		.amdhsa_system_sgpr_private_segment_wavefront_offset 0
		.amdhsa_system_sgpr_workgroup_id_x 1
		.amdhsa_system_sgpr_workgroup_id_y 0
		.amdhsa_system_sgpr_workgroup_id_z 0
		.amdhsa_system_sgpr_workgroup_info 0
		.amdhsa_system_vgpr_workitem_id 0
		.amdhsa_next_free_vgpr 11
		.amdhsa_next_free_sgpr 18
		.amdhsa_reserve_vcc 1
		.amdhsa_reserve_flat_scratch 0
		.amdhsa_float_round_mode_32 0
		.amdhsa_float_round_mode_16_64 0
		.amdhsa_float_denorm_mode_32 3
		.amdhsa_float_denorm_mode_16_64 3
		.amdhsa_dx10_clamp 1
		.amdhsa_ieee_mode 1
		.amdhsa_fp16_overflow 0
		.amdhsa_exception_fp_ieee_invalid_op 0
		.amdhsa_exception_fp_denorm_src 0
		.amdhsa_exception_fp_ieee_div_zero 0
		.amdhsa_exception_fp_ieee_overflow 0
		.amdhsa_exception_fp_ieee_underflow 0
		.amdhsa_exception_fp_ieee_inexact 0
		.amdhsa_exception_int_div_zero 0
	.end_amdhsa_kernel
	.section	.text._ZN9rocsparseL19coomvn_atomic_loopsILj256ELj1ElffffEEvlNS_24const_host_device_scalarIT5_EEPKT1_S6_PKT2_PKT3_PT4_21rocsparse_index_base_b,"axG",@progbits,_ZN9rocsparseL19coomvn_atomic_loopsILj256ELj1ElffffEEvlNS_24const_host_device_scalarIT5_EEPKT1_S6_PKT2_PKT3_PT4_21rocsparse_index_base_b,comdat
.Lfunc_end10:
	.size	_ZN9rocsparseL19coomvn_atomic_loopsILj256ELj1ElffffEEvlNS_24const_host_device_scalarIT5_EEPKT1_S6_PKT2_PKT3_PT4_21rocsparse_index_base_b, .Lfunc_end10-_ZN9rocsparseL19coomvn_atomic_loopsILj256ELj1ElffffEEvlNS_24const_host_device_scalarIT5_EEPKT1_S6_PKT2_PKT3_PT4_21rocsparse_index_base_b
                                        ; -- End function
	.set _ZN9rocsparseL19coomvn_atomic_loopsILj256ELj1ElffffEEvlNS_24const_host_device_scalarIT5_EEPKT1_S6_PKT2_PKT3_PT4_21rocsparse_index_base_b.num_vgpr, 11
	.set _ZN9rocsparseL19coomvn_atomic_loopsILj256ELj1ElffffEEvlNS_24const_host_device_scalarIT5_EEPKT1_S6_PKT2_PKT3_PT4_21rocsparse_index_base_b.num_agpr, 0
	.set _ZN9rocsparseL19coomvn_atomic_loopsILj256ELj1ElffffEEvlNS_24const_host_device_scalarIT5_EEPKT1_S6_PKT2_PKT3_PT4_21rocsparse_index_base_b.numbered_sgpr, 18
	.set _ZN9rocsparseL19coomvn_atomic_loopsILj256ELj1ElffffEEvlNS_24const_host_device_scalarIT5_EEPKT1_S6_PKT2_PKT3_PT4_21rocsparse_index_base_b.num_named_barrier, 0
	.set _ZN9rocsparseL19coomvn_atomic_loopsILj256ELj1ElffffEEvlNS_24const_host_device_scalarIT5_EEPKT1_S6_PKT2_PKT3_PT4_21rocsparse_index_base_b.private_seg_size, 0
	.set _ZN9rocsparseL19coomvn_atomic_loopsILj256ELj1ElffffEEvlNS_24const_host_device_scalarIT5_EEPKT1_S6_PKT2_PKT3_PT4_21rocsparse_index_base_b.uses_vcc, 1
	.set _ZN9rocsparseL19coomvn_atomic_loopsILj256ELj1ElffffEEvlNS_24const_host_device_scalarIT5_EEPKT1_S6_PKT2_PKT3_PT4_21rocsparse_index_base_b.uses_flat_scratch, 0
	.set _ZN9rocsparseL19coomvn_atomic_loopsILj256ELj1ElffffEEvlNS_24const_host_device_scalarIT5_EEPKT1_S6_PKT2_PKT3_PT4_21rocsparse_index_base_b.has_dyn_sized_stack, 0
	.set _ZN9rocsparseL19coomvn_atomic_loopsILj256ELj1ElffffEEvlNS_24const_host_device_scalarIT5_EEPKT1_S6_PKT2_PKT3_PT4_21rocsparse_index_base_b.has_recursion, 0
	.set _ZN9rocsparseL19coomvn_atomic_loopsILj256ELj1ElffffEEvlNS_24const_host_device_scalarIT5_EEPKT1_S6_PKT2_PKT3_PT4_21rocsparse_index_base_b.has_indirect_call, 0
	.section	.AMDGPU.csdata,"",@progbits
; Kernel info:
; codeLenInByte = 1272
; TotalNumSgprs: 22
; NumVgprs: 11
; ScratchSize: 0
; MemoryBound: 0
; FloatMode: 240
; IeeeMode: 1
; LDSByteSize: 3072 bytes/workgroup (compile time only)
; SGPRBlocks: 2
; VGPRBlocks: 2
; NumSGPRsForWavesPerEU: 22
; NumVGPRsForWavesPerEU: 11
; Occupancy: 10
; WaveLimiterHint : 1
; COMPUTE_PGM_RSRC2:SCRATCH_EN: 0
; COMPUTE_PGM_RSRC2:USER_SGPR: 6
; COMPUTE_PGM_RSRC2:TRAP_HANDLER: 0
; COMPUTE_PGM_RSRC2:TGID_X_EN: 1
; COMPUTE_PGM_RSRC2:TGID_Y_EN: 0
; COMPUTE_PGM_RSRC2:TGID_Z_EN: 0
; COMPUTE_PGM_RSRC2:TIDIG_COMP_CNT: 0
	.section	.text._ZN9rocsparseL19coomvn_atomic_loopsILj256ELj2ElffffEEvlNS_24const_host_device_scalarIT5_EEPKT1_S6_PKT2_PKT3_PT4_21rocsparse_index_base_b,"axG",@progbits,_ZN9rocsparseL19coomvn_atomic_loopsILj256ELj2ElffffEEvlNS_24const_host_device_scalarIT5_EEPKT1_S6_PKT2_PKT3_PT4_21rocsparse_index_base_b,comdat
	.globl	_ZN9rocsparseL19coomvn_atomic_loopsILj256ELj2ElffffEEvlNS_24const_host_device_scalarIT5_EEPKT1_S6_PKT2_PKT3_PT4_21rocsparse_index_base_b ; -- Begin function _ZN9rocsparseL19coomvn_atomic_loopsILj256ELj2ElffffEEvlNS_24const_host_device_scalarIT5_EEPKT1_S6_PKT2_PKT3_PT4_21rocsparse_index_base_b
	.p2align	8
	.type	_ZN9rocsparseL19coomvn_atomic_loopsILj256ELj2ElffffEEvlNS_24const_host_device_scalarIT5_EEPKT1_S6_PKT2_PKT3_PT4_21rocsparse_index_base_b,@function
_ZN9rocsparseL19coomvn_atomic_loopsILj256ELj2ElffffEEvlNS_24const_host_device_scalarIT5_EEPKT1_S6_PKT2_PKT3_PT4_21rocsparse_index_base_b: ; @_ZN9rocsparseL19coomvn_atomic_loopsILj256ELj2ElffffEEvlNS_24const_host_device_scalarIT5_EEPKT1_S6_PKT2_PKT3_PT4_21rocsparse_index_base_b
; %bb.0:
	s_load_dwordx2 s[34:35], s[4:5], 0x38
	s_load_dwordx4 s[36:39], s[4:5], 0x0
	s_waitcnt lgkmcnt(0)
	s_bitcmp1_b32 s35, 0
	s_cselect_b64 s[0:1], -1, 0
	s_and_b64 vcc, exec, s[0:1]
	s_cbranch_vccnz .LBB11_2
; %bb.1:
	s_load_dword s38, s[38:39], 0x0
.LBB11_2:
	s_waitcnt lgkmcnt(0)
	v_cmp_eq_f32_e64 s[0:1], s38, 0
	s_and_b64 vcc, exec, s[0:1]
	s_cbranch_vccnz .LBB11_92
; %bb.3:
	s_load_dwordx8 s[24:31], s[4:5], 0x10
	v_lshl_or_b32 v5, s6, 9, v0
	v_mov_b32_e32 v6, 0
	v_cmp_gt_i64_e32 vcc, s[36:37], v[5:6]
	v_mov_b32_e32 v7, -1
	v_lshlrev_b64 v[3:4], 3, v[5:6]
	v_lshlrev_b64 v[1:2], 2, v[5:6]
	v_mov_b32_e32 v8, -1
	s_and_saveexec_b64 s[0:1], vcc
	s_cbranch_execz .LBB11_5
; %bb.4:
	s_waitcnt lgkmcnt(0)
	v_mov_b32_e32 v7, s27
	v_add_co_u32_e32 v6, vcc, s26, v3
	v_addc_co_u32_e32 v7, vcc, v7, v4, vcc
	global_load_dwordx2 v[6:7], v[6:7], off glc slc
	v_mov_b32_e32 v9, s25
	v_add_co_u32_e32 v8, vcc, s24, v3
	v_addc_co_u32_e32 v9, vcc, v9, v4, vcc
	v_mov_b32_e32 v11, s29
	v_add_co_u32_e32 v10, vcc, s28, v1
	v_addc_co_u32_e32 v11, vcc, v11, v2, vcc
	v_mov_b32_e32 v14, s31
	global_load_dwordx2 v[12:13], v[8:9], off glc slc
	global_load_dword v15, v[10:11], off glc slc
	s_waitcnt vmcnt(2)
	v_subrev_co_u32_e32 v6, vcc, s34, v6
	v_subbrev_co_u32_e32 v7, vcc, 0, v7, vcc
	v_lshlrev_b64 v[6:7], 2, v[6:7]
	v_add_co_u32_e32 v6, vcc, s30, v6
	v_addc_co_u32_e32 v7, vcc, v14, v7, vcc
	global_load_dword v6, v[6:7], off
	s_waitcnt vmcnt(2)
	v_subrev_co_u32_e32 v7, vcc, s34, v12
	v_subbrev_co_u32_e32 v8, vcc, 0, v13, vcc
	s_waitcnt vmcnt(0)
	v_mul_f32_e32 v6, v15, v6
.LBB11_5:
	s_or_b64 exec, exec, s[0:1]
	v_lshlrev_b32_e32 v11, 3, v0
	v_lshlrev_b32_e32 v9, 2, v0
	v_or_b32_e32 v12, 0x800, v9
	v_cmp_eq_u32_e64 s[18:19], 0, v0
	v_cmp_ne_u32_e64 s[0:1], 0, v0
	v_add_u32_e32 v13, -8, v11
	ds_write_b64 v11, v[7:8]
	ds_write_b32 v9, v6 offset:2048
	s_waitcnt lgkmcnt(0)
	s_barrier
	s_and_saveexec_b64 s[2:3], s[0:1]
	s_cbranch_execz .LBB11_9
; %bb.6:
	ds_read_b64 v[9:10], v13
	s_waitcnt lgkmcnt(0)
	v_cmp_eq_u64_e32 vcc, v[7:8], v[9:10]
	s_and_saveexec_b64 s[6:7], vcc
	s_cbranch_execz .LBB11_8
; %bb.7:
	v_add_u32_e32 v9, -4, v12
	ds_read_b32 v9, v9
	s_waitcnt lgkmcnt(0)
	v_add_f32_e32 v6, v6, v9
.LBB11_8:
	s_or_b64 exec, exec, s[6:7]
.LBB11_9:
	s_or_b64 exec, exec, s[2:3]
	v_cmp_lt_u32_e64 s[2:3], 1, v0
	v_add_u32_e32 v14, -16, v11
	s_barrier
	ds_write_b32 v12, v6
	s_waitcnt lgkmcnt(0)
	s_barrier
	s_and_saveexec_b64 s[6:7], s[2:3]
	s_cbranch_execz .LBB11_13
; %bb.10:
	ds_read_b64 v[9:10], v14
	s_waitcnt lgkmcnt(0)
	v_cmp_eq_u64_e32 vcc, v[7:8], v[9:10]
	s_and_saveexec_b64 s[8:9], vcc
	s_cbranch_execz .LBB11_12
; %bb.11:
	v_add_u32_e32 v9, -8, v12
	ds_read_b32 v9, v9
	s_waitcnt lgkmcnt(0)
	v_add_f32_e32 v6, v6, v9
.LBB11_12:
	s_or_b64 exec, exec, s[8:9]
.LBB11_13:
	s_or_b64 exec, exec, s[6:7]
	v_cmp_lt_u32_e64 s[20:21], 3, v0
	v_subrev_u32_e32 v15, 32, v11
	s_barrier
	ds_write_b32 v12, v6
	s_waitcnt lgkmcnt(0)
	s_barrier
	s_and_saveexec_b64 s[6:7], s[20:21]
	s_cbranch_execz .LBB11_17
; %bb.14:
	ds_read_b64 v[9:10], v15
	s_waitcnt lgkmcnt(0)
	v_cmp_eq_u64_e32 vcc, v[7:8], v[9:10]
	s_and_saveexec_b64 s[8:9], vcc
	s_cbranch_execz .LBB11_16
; %bb.15:
	v_add_u32_e32 v9, -16, v12
	ds_read_b32 v9, v9
	s_waitcnt lgkmcnt(0)
	v_add_f32_e32 v6, v6, v9
.LBB11_16:
	s_or_b64 exec, exec, s[8:9]
.LBB11_17:
	s_or_b64 exec, exec, s[6:7]
	v_cmp_lt_u32_e64 s[6:7], 7, v0
	v_subrev_u32_e32 v16, 64, v11
	s_barrier
	ds_write_b32 v12, v6
	s_waitcnt lgkmcnt(0)
	s_barrier
	s_and_saveexec_b64 s[8:9], s[6:7]
	s_cbranch_execz .LBB11_21
; %bb.18:
	ds_read_b64 v[9:10], v16
	s_waitcnt lgkmcnt(0)
	v_cmp_eq_u64_e32 vcc, v[7:8], v[9:10]
	s_and_saveexec_b64 s[10:11], vcc
	s_cbranch_execz .LBB11_20
; %bb.19:
	v_subrev_u32_e32 v9, 32, v12
	ds_read_b32 v9, v9
	s_waitcnt lgkmcnt(0)
	v_add_f32_e32 v6, v6, v9
.LBB11_20:
	s_or_b64 exec, exec, s[10:11]
.LBB11_21:
	s_or_b64 exec, exec, s[8:9]
	v_cmp_lt_u32_e64 s[8:9], 15, v0
	s_barrier
	ds_write_b32 v12, v6
	s_waitcnt lgkmcnt(0)
	s_barrier
	s_and_saveexec_b64 s[10:11], s[8:9]
	s_cbranch_execz .LBB11_25
; %bb.22:
	v_add_u32_e32 v9, 0xffffff80, v11
	ds_read_b64 v[9:10], v9
	s_waitcnt lgkmcnt(0)
	v_cmp_eq_u64_e32 vcc, v[7:8], v[9:10]
	s_and_saveexec_b64 s[12:13], vcc
	s_cbranch_execz .LBB11_24
; %bb.23:
	v_subrev_u32_e32 v9, 64, v12
	ds_read_b32 v9, v9
	s_waitcnt lgkmcnt(0)
	v_add_f32_e32 v6, v6, v9
.LBB11_24:
	s_or_b64 exec, exec, s[12:13]
.LBB11_25:
	s_or_b64 exec, exec, s[10:11]
	v_cmp_lt_u32_e64 s[10:11], 31, v0
	s_barrier
	ds_write_b32 v12, v6
	s_waitcnt lgkmcnt(0)
	s_barrier
	s_and_saveexec_b64 s[12:13], s[10:11]
	s_cbranch_execz .LBB11_29
; %bb.26:
	v_add_u32_e32 v9, 0xffffff00, v11
	ds_read_b64 v[9:10], v9
	s_waitcnt lgkmcnt(0)
	v_cmp_eq_u64_e32 vcc, v[7:8], v[9:10]
	s_and_saveexec_b64 s[14:15], vcc
	s_cbranch_execz .LBB11_28
; %bb.27:
	v_add_u32_e32 v9, 0xffffff80, v12
	ds_read_b32 v9, v9
	s_waitcnt lgkmcnt(0)
	v_add_f32_e32 v6, v6, v9
.LBB11_28:
	s_or_b64 exec, exec, s[14:15]
.LBB11_29:
	s_or_b64 exec, exec, s[12:13]
	v_cmp_lt_u32_e64 s[12:13], 63, v0
	s_barrier
	ds_write_b32 v12, v6
	s_waitcnt lgkmcnt(0)
	s_barrier
	s_and_saveexec_b64 s[14:15], s[12:13]
	s_cbranch_execz .LBB11_33
; %bb.30:
	v_add_u32_e32 v9, 0xfffffe00, v11
	ds_read_b64 v[9:10], v9
	s_waitcnt lgkmcnt(0)
	v_cmp_eq_u64_e32 vcc, v[7:8], v[9:10]
	s_and_saveexec_b64 s[16:17], vcc
	s_cbranch_execz .LBB11_32
; %bb.31:
	v_add_u32_e32 v9, 0xffffff00, v12
	ds_read_b32 v9, v9
	s_waitcnt lgkmcnt(0)
	v_add_f32_e32 v6, v6, v9
.LBB11_32:
	s_or_b64 exec, exec, s[16:17]
.LBB11_33:
	s_or_b64 exec, exec, s[14:15]
	s_load_dwordx2 s[22:23], s[4:5], 0x30
	s_movk_i32 s4, 0x7f
	v_cmp_lt_u32_e64 s[14:15], s4, v0
	s_waitcnt lgkmcnt(0)
	s_barrier
	ds_write_b32 v12, v6
	s_waitcnt lgkmcnt(0)
	s_barrier
	s_and_saveexec_b64 s[4:5], s[14:15]
	s_cbranch_execz .LBB11_37
; %bb.34:
	v_add_u32_e32 v9, 0xfffffc00, v11
	ds_read_b64 v[9:10], v9
	s_waitcnt lgkmcnt(0)
	v_cmp_eq_u64_e32 vcc, v[7:8], v[9:10]
	s_and_saveexec_b64 s[16:17], vcc
	s_cbranch_execz .LBB11_36
; %bb.35:
	v_add_u32_e32 v9, 0xfffffe00, v12
	ds_read_b32 v9, v9
	s_waitcnt lgkmcnt(0)
	v_add_f32_e32 v6, v6, v9
.LBB11_36:
	s_or_b64 exec, exec, s[16:17]
.LBB11_37:
	s_or_b64 exec, exec, s[4:5]
	s_movk_i32 s4, 0xff
	v_cmp_gt_u32_e64 s[16:17], s4, v0
	s_barrier
	ds_write_b32 v12, v6
	s_waitcnt lgkmcnt(0)
	s_barrier
	s_and_saveexec_b64 s[40:41], s[16:17]
	s_cbranch_execz .LBB11_41
; %bb.38:
	ds_read_b64 v[9:10], v11 offset:8
	v_cmp_lt_i64_e64 s[4:5], -1, v[7:8]
	s_waitcnt lgkmcnt(0)
	v_cmp_ne_u64_e32 vcc, v[7:8], v[9:10]
	s_and_b64 s[4:5], s[4:5], vcc
	s_and_b64 exec, exec, s[4:5]
	s_cbranch_execz .LBB11_41
; %bb.39:
	v_lshlrev_b64 v[7:8], 2, v[7:8]
	v_mov_b32_e32 v9, s23
	v_add_co_u32_e32 v7, vcc, s22, v7
	v_addc_co_u32_e32 v8, vcc, v9, v8, vcc
	global_load_dword v10, v[7:8], off
	v_mul_f32_e32 v6, s38, v6
	s_mov_b64 s[4:5], 0
.LBB11_40:                              ; =>This Inner Loop Header: Depth=1
	s_waitcnt vmcnt(0)
	v_add_f32_e32 v9, v10, v6
	global_atomic_cmpswap v9, v[7:8], v[9:10], off glc
	s_waitcnt vmcnt(0)
	v_cmp_eq_u32_e32 vcc, v9, v10
	s_or_b64 s[4:5], vcc, s[4:5]
	v_mov_b32_e32 v10, v9
	s_andn2_b64 exec, exec, s[4:5]
	s_cbranch_execnz .LBB11_40
.LBB11_41:
	s_or_b64 exec, exec, s[40:41]
	v_add_co_u32_e32 v5, vcc, 0x100, v5
	v_addc_co_u32_e64 v6, s[4:5], 0, 0, vcc
	v_cmp_gt_i64_e32 vcc, s[36:37], v[5:6]
	v_mov_b32_e32 v5, -1
	v_mov_b32_e32 v6, -1
	v_mov_b32_e32 v7, 0
	s_and_saveexec_b64 s[4:5], vcc
	s_cbranch_execz .LBB11_43
; %bb.42:
	v_mov_b32_e32 v6, s27
	v_add_co_u32_e32 v5, vcc, s26, v3
	v_addc_co_u32_e32 v6, vcc, v6, v4, vcc
	global_load_dwordx2 v[5:6], v[5:6], off offset:2048 glc slc
	v_mov_b32_e32 v7, s25
	v_add_co_u32_e32 v3, vcc, s24, v3
	v_addc_co_u32_e32 v4, vcc, v7, v4, vcc
	v_mov_b32_e32 v8, s29
	v_add_co_u32_e32 v1, vcc, s28, v1
	v_addc_co_u32_e32 v2, vcc, v8, v2, vcc
	global_load_dwordx2 v[7:8], v[3:4], off offset:2048 glc slc
	global_load_dword v10, v[1:2], off offset:1024 glc slc
	v_mov_b32_e32 v9, s31
	s_waitcnt vmcnt(2)
	v_subrev_co_u32_e32 v1, vcc, s34, v5
	v_subbrev_co_u32_e32 v2, vcc, 0, v6, vcc
	v_lshlrev_b64 v[1:2], 2, v[1:2]
	v_add_co_u32_e32 v1, vcc, s30, v1
	v_addc_co_u32_e32 v2, vcc, v9, v2, vcc
	global_load_dword v1, v[1:2], off
	s_waitcnt vmcnt(2)
	v_subrev_co_u32_e32 v5, vcc, s34, v7
	v_subbrev_co_u32_e32 v6, vcc, 0, v8, vcc
	s_waitcnt vmcnt(0)
	v_mul_f32_e32 v7, v10, v1
.LBB11_43:
	s_or_b64 exec, exec, s[4:5]
	s_and_saveexec_b64 s[4:5], s[18:19]
	s_cbranch_execz .LBB11_53
; %bb.44:
	v_mov_b32_e32 v1, 0
	ds_read_b64 v[1:2], v1 offset:2040
	s_waitcnt lgkmcnt(0)
	v_cmp_ne_u64_e32 vcc, v[5:6], v[1:2]
	s_and_saveexec_b64 s[18:19], vcc
	s_xor_b64 s[18:19], exec, s[18:19]
	s_cbranch_execz .LBB11_50
; %bb.45:
	v_cmp_gt_i64_e32 vcc, 0, v[1:2]
	s_cbranch_vccnz .LBB11_50
; %bb.46:
	s_mov_b64 s[26:27], exec
	v_mbcnt_lo_u32_b32 v3, s26, 0
	v_mbcnt_hi_u32_b32 v3, s27, v3
	v_cmp_eq_u32_e32 vcc, 0, v3
	s_and_saveexec_b64 s[24:25], vcc
	s_cbranch_execz .LBB11_49
; %bb.47:
	v_lshlrev_b64 v[1:2], 2, v[1:2]
	v_mov_b32_e32 v3, s23
	v_add_co_u32_e32 v1, vcc, s22, v1
	v_addc_co_u32_e32 v2, vcc, v3, v2, vcc
	global_load_dword v4, v[1:2], off
	v_mov_b32_e32 v3, 0
	ds_read_b32 v3, v3 offset:3068
	s_bcnt1_i32_b64 s26, s[26:27]
	v_cvt_f32_ubyte0_e32 v8, s26
	s_mov_b64 s[26:27], 0
	s_waitcnt lgkmcnt(0)
	v_mul_f32_e32 v3, s38, v3
	v_mul_f32_e32 v8, v3, v8
.LBB11_48:                              ; =>This Inner Loop Header: Depth=1
	s_waitcnt vmcnt(0)
	v_add_f32_e32 v3, v4, v8
	global_atomic_cmpswap v3, v[1:2], v[3:4], off glc
	s_waitcnt vmcnt(0)
	v_cmp_eq_u32_e32 vcc, v3, v4
	s_or_b64 s[26:27], vcc, s[26:27]
	v_mov_b32_e32 v4, v3
	s_andn2_b64 exec, exec, s[26:27]
	s_cbranch_execnz .LBB11_48
.LBB11_49:
	s_or_b64 exec, exec, s[24:25]
.LBB11_50:
	s_andn2_saveexec_b64 s[18:19], s[18:19]
	s_cbranch_execz .LBB11_52
; %bb.51:
	v_mov_b32_e32 v1, 0
	ds_read_b32 v1, v1 offset:3068
	s_waitcnt lgkmcnt(0)
	v_add_f32_e32 v7, v7, v1
.LBB11_52:
	s_or_b64 exec, exec, s[18:19]
.LBB11_53:
	s_or_b64 exec, exec, s[4:5]
	s_barrier
	ds_write_b64 v11, v[5:6]
	ds_write_b32 v12, v7
	s_waitcnt lgkmcnt(0)
	s_barrier
	s_and_saveexec_b64 s[4:5], s[0:1]
	s_cbranch_execz .LBB11_57
; %bb.54:
	ds_read_b64 v[1:2], v13
	s_waitcnt lgkmcnt(0)
	v_cmp_eq_u64_e32 vcc, v[5:6], v[1:2]
	s_and_saveexec_b64 s[0:1], vcc
	s_cbranch_execz .LBB11_56
; %bb.55:
	v_add_u32_e32 v1, -4, v12
	ds_read_b32 v1, v1
	s_waitcnt lgkmcnt(0)
	v_add_f32_e32 v7, v7, v1
.LBB11_56:
	s_or_b64 exec, exec, s[0:1]
.LBB11_57:
	s_or_b64 exec, exec, s[4:5]
	s_barrier
	ds_write_b32 v12, v7
	s_waitcnt lgkmcnt(0)
	s_barrier
	s_and_saveexec_b64 s[0:1], s[2:3]
	s_cbranch_execz .LBB11_61
; %bb.58:
	ds_read_b64 v[1:2], v14
	s_waitcnt lgkmcnt(0)
	v_cmp_eq_u64_e32 vcc, v[5:6], v[1:2]
	s_and_saveexec_b64 s[2:3], vcc
	s_cbranch_execz .LBB11_60
; %bb.59:
	v_add_u32_e32 v1, -8, v12
	ds_read_b32 v1, v1
	s_waitcnt lgkmcnt(0)
	v_add_f32_e32 v7, v7, v1
.LBB11_60:
	s_or_b64 exec, exec, s[2:3]
.LBB11_61:
	s_or_b64 exec, exec, s[0:1]
	s_barrier
	;; [unrolled: 21-line block ×3, first 2 shown]
	ds_write_b32 v12, v7
	s_waitcnt lgkmcnt(0)
	s_barrier
	s_and_saveexec_b64 s[0:1], s[6:7]
	s_cbranch_execz .LBB11_69
; %bb.66:
	ds_read_b64 v[1:2], v16
	s_waitcnt lgkmcnt(0)
	v_cmp_eq_u64_e32 vcc, v[5:6], v[1:2]
	s_and_saveexec_b64 s[2:3], vcc
	s_cbranch_execz .LBB11_68
; %bb.67:
	v_subrev_u32_e32 v1, 32, v12
	ds_read_b32 v1, v1
	s_waitcnt lgkmcnt(0)
	v_add_f32_e32 v7, v7, v1
.LBB11_68:
	s_or_b64 exec, exec, s[2:3]
.LBB11_69:
	s_or_b64 exec, exec, s[0:1]
	s_barrier
	ds_write_b32 v12, v7
	s_waitcnt lgkmcnt(0)
	s_barrier
	s_and_saveexec_b64 s[0:1], s[8:9]
	s_cbranch_execz .LBB11_73
; %bb.70:
	v_add_u32_e32 v1, 0xffffff80, v11
	ds_read_b64 v[1:2], v1
	s_waitcnt lgkmcnt(0)
	v_cmp_eq_u64_e32 vcc, v[5:6], v[1:2]
	s_and_saveexec_b64 s[2:3], vcc
	s_cbranch_execz .LBB11_72
; %bb.71:
	v_subrev_u32_e32 v1, 64, v12
	ds_read_b32 v1, v1
	s_waitcnt lgkmcnt(0)
	v_add_f32_e32 v7, v7, v1
.LBB11_72:
	s_or_b64 exec, exec, s[2:3]
.LBB11_73:
	s_or_b64 exec, exec, s[0:1]
	s_barrier
	ds_write_b32 v12, v7
	s_waitcnt lgkmcnt(0)
	s_barrier
	s_and_saveexec_b64 s[0:1], s[10:11]
	s_cbranch_execz .LBB11_77
; %bb.74:
	v_add_u32_e32 v1, 0xffffff00, v11
	ds_read_b64 v[1:2], v1
	s_waitcnt lgkmcnt(0)
	v_cmp_eq_u64_e32 vcc, v[5:6], v[1:2]
	s_and_saveexec_b64 s[2:3], vcc
	s_cbranch_execz .LBB11_76
; %bb.75:
	v_add_u32_e32 v1, 0xffffff80, v12
	ds_read_b32 v1, v1
	s_waitcnt lgkmcnt(0)
	v_add_f32_e32 v7, v7, v1
.LBB11_76:
	s_or_b64 exec, exec, s[2:3]
.LBB11_77:
	s_or_b64 exec, exec, s[0:1]
	s_barrier
	ds_write_b32 v12, v7
	s_waitcnt lgkmcnt(0)
	s_barrier
	s_and_saveexec_b64 s[0:1], s[12:13]
	s_cbranch_execz .LBB11_81
; %bb.78:
	v_add_u32_e32 v1, 0xfffffe00, v11
	ds_read_b64 v[1:2], v1
	s_waitcnt lgkmcnt(0)
	v_cmp_eq_u64_e32 vcc, v[5:6], v[1:2]
	s_and_saveexec_b64 s[2:3], vcc
	s_cbranch_execz .LBB11_80
; %bb.79:
	v_add_u32_e32 v1, 0xffffff00, v12
	ds_read_b32 v1, v1
	s_waitcnt lgkmcnt(0)
	v_add_f32_e32 v7, v7, v1
.LBB11_80:
	s_or_b64 exec, exec, s[2:3]
.LBB11_81:
	;; [unrolled: 22-line block ×3, first 2 shown]
	s_or_b64 exec, exec, s[0:1]
	s_barrier
	ds_write_b32 v12, v7
	s_waitcnt lgkmcnt(0)
	s_barrier
	s_and_saveexec_b64 s[2:3], s[16:17]
	s_cbranch_execz .LBB11_89
; %bb.86:
	ds_read_b64 v[1:2], v11 offset:8
	v_cmp_lt_i64_e64 s[0:1], -1, v[5:6]
	s_waitcnt lgkmcnt(0)
	v_cmp_ne_u64_e32 vcc, v[5:6], v[1:2]
	s_and_b64 s[0:1], s[0:1], vcc
	s_and_b64 exec, exec, s[0:1]
	s_cbranch_execz .LBB11_89
; %bb.87:
	v_lshlrev_b64 v[1:2], 2, v[5:6]
	v_mov_b32_e32 v3, s23
	v_add_co_u32_e32 v1, vcc, s22, v1
	v_addc_co_u32_e32 v2, vcc, v3, v2, vcc
	global_load_dword v4, v[1:2], off
	v_mul_f32_e32 v8, s38, v7
	s_mov_b64 s[0:1], 0
.LBB11_88:                              ; =>This Inner Loop Header: Depth=1
	s_waitcnt vmcnt(0)
	v_add_f32_e32 v3, v4, v8
	global_atomic_cmpswap v3, v[1:2], v[3:4], off glc
	s_waitcnt vmcnt(0)
	v_cmp_eq_u32_e32 vcc, v3, v4
	s_or_b64 s[0:1], vcc, s[0:1]
	v_mov_b32_e32 v4, v3
	s_andn2_b64 exec, exec, s[0:1]
	s_cbranch_execnz .LBB11_88
.LBB11_89:
	s_or_b64 exec, exec, s[2:3]
	s_movk_i32 s0, 0xff
	v_cmp_lt_i64_e32 vcc, -1, v[5:6]
	v_cmp_eq_u32_e64 s[0:1], s0, v0
	s_and_b64 s[0:1], s[0:1], vcc
	s_and_saveexec_b64 s[2:3], s[0:1]
	s_cbranch_execz .LBB11_92
; %bb.90:
	v_lshlrev_b64 v[0:1], 2, v[5:6]
	v_mov_b32_e32 v2, s23
	v_add_co_u32_e32 v0, vcc, s22, v0
	v_addc_co_u32_e32 v1, vcc, v2, v1, vcc
	global_load_dword v3, v[0:1], off
	v_mul_f32_e32 v4, s38, v7
	s_mov_b64 s[0:1], 0
.LBB11_91:                              ; =>This Inner Loop Header: Depth=1
	s_waitcnt vmcnt(0)
	v_add_f32_e32 v2, v3, v4
	global_atomic_cmpswap v2, v[0:1], v[2:3], off glc
	s_waitcnt vmcnt(0)
	v_cmp_eq_u32_e32 vcc, v2, v3
	s_or_b64 s[0:1], vcc, s[0:1]
	v_mov_b32_e32 v3, v2
	s_andn2_b64 exec, exec, s[0:1]
	s_cbranch_execnz .LBB11_91
.LBB11_92:
	s_endpgm
	.section	.rodata,"a",@progbits
	.p2align	6, 0x0
	.amdhsa_kernel _ZN9rocsparseL19coomvn_atomic_loopsILj256ELj2ElffffEEvlNS_24const_host_device_scalarIT5_EEPKT1_S6_PKT2_PKT3_PT4_21rocsparse_index_base_b
		.amdhsa_group_segment_fixed_size 3072
		.amdhsa_private_segment_fixed_size 0
		.amdhsa_kernarg_size 64
		.amdhsa_user_sgpr_count 6
		.amdhsa_user_sgpr_private_segment_buffer 1
		.amdhsa_user_sgpr_dispatch_ptr 0
		.amdhsa_user_sgpr_queue_ptr 0
		.amdhsa_user_sgpr_kernarg_segment_ptr 1
		.amdhsa_user_sgpr_dispatch_id 0
		.amdhsa_user_sgpr_flat_scratch_init 0
		.amdhsa_user_sgpr_private_segment_size 0
		.amdhsa_uses_dynamic_stack 0
		.amdhsa_system_sgpr_private_segment_wavefront_offset 0
		.amdhsa_system_sgpr_workgroup_id_x 1
		.amdhsa_system_sgpr_workgroup_id_y 0
		.amdhsa_system_sgpr_workgroup_id_z 0
		.amdhsa_system_sgpr_workgroup_info 0
		.amdhsa_system_vgpr_workitem_id 0
		.amdhsa_next_free_vgpr 17
		.amdhsa_next_free_sgpr 42
		.amdhsa_reserve_vcc 1
		.amdhsa_reserve_flat_scratch 0
		.amdhsa_float_round_mode_32 0
		.amdhsa_float_round_mode_16_64 0
		.amdhsa_float_denorm_mode_32 3
		.amdhsa_float_denorm_mode_16_64 3
		.amdhsa_dx10_clamp 1
		.amdhsa_ieee_mode 1
		.amdhsa_fp16_overflow 0
		.amdhsa_exception_fp_ieee_invalid_op 0
		.amdhsa_exception_fp_denorm_src 0
		.amdhsa_exception_fp_ieee_div_zero 0
		.amdhsa_exception_fp_ieee_overflow 0
		.amdhsa_exception_fp_ieee_underflow 0
		.amdhsa_exception_fp_ieee_inexact 0
		.amdhsa_exception_int_div_zero 0
	.end_amdhsa_kernel
	.section	.text._ZN9rocsparseL19coomvn_atomic_loopsILj256ELj2ElffffEEvlNS_24const_host_device_scalarIT5_EEPKT1_S6_PKT2_PKT3_PT4_21rocsparse_index_base_b,"axG",@progbits,_ZN9rocsparseL19coomvn_atomic_loopsILj256ELj2ElffffEEvlNS_24const_host_device_scalarIT5_EEPKT1_S6_PKT2_PKT3_PT4_21rocsparse_index_base_b,comdat
.Lfunc_end11:
	.size	_ZN9rocsparseL19coomvn_atomic_loopsILj256ELj2ElffffEEvlNS_24const_host_device_scalarIT5_EEPKT1_S6_PKT2_PKT3_PT4_21rocsparse_index_base_b, .Lfunc_end11-_ZN9rocsparseL19coomvn_atomic_loopsILj256ELj2ElffffEEvlNS_24const_host_device_scalarIT5_EEPKT1_S6_PKT2_PKT3_PT4_21rocsparse_index_base_b
                                        ; -- End function
	.set _ZN9rocsparseL19coomvn_atomic_loopsILj256ELj2ElffffEEvlNS_24const_host_device_scalarIT5_EEPKT1_S6_PKT2_PKT3_PT4_21rocsparse_index_base_b.num_vgpr, 17
	.set _ZN9rocsparseL19coomvn_atomic_loopsILj256ELj2ElffffEEvlNS_24const_host_device_scalarIT5_EEPKT1_S6_PKT2_PKT3_PT4_21rocsparse_index_base_b.num_agpr, 0
	.set _ZN9rocsparseL19coomvn_atomic_loopsILj256ELj2ElffffEEvlNS_24const_host_device_scalarIT5_EEPKT1_S6_PKT2_PKT3_PT4_21rocsparse_index_base_b.numbered_sgpr, 42
	.set _ZN9rocsparseL19coomvn_atomic_loopsILj256ELj2ElffffEEvlNS_24const_host_device_scalarIT5_EEPKT1_S6_PKT2_PKT3_PT4_21rocsparse_index_base_b.num_named_barrier, 0
	.set _ZN9rocsparseL19coomvn_atomic_loopsILj256ELj2ElffffEEvlNS_24const_host_device_scalarIT5_EEPKT1_S6_PKT2_PKT3_PT4_21rocsparse_index_base_b.private_seg_size, 0
	.set _ZN9rocsparseL19coomvn_atomic_loopsILj256ELj2ElffffEEvlNS_24const_host_device_scalarIT5_EEPKT1_S6_PKT2_PKT3_PT4_21rocsparse_index_base_b.uses_vcc, 1
	.set _ZN9rocsparseL19coomvn_atomic_loopsILj256ELj2ElffffEEvlNS_24const_host_device_scalarIT5_EEPKT1_S6_PKT2_PKT3_PT4_21rocsparse_index_base_b.uses_flat_scratch, 0
	.set _ZN9rocsparseL19coomvn_atomic_loopsILj256ELj2ElffffEEvlNS_24const_host_device_scalarIT5_EEPKT1_S6_PKT2_PKT3_PT4_21rocsparse_index_base_b.has_dyn_sized_stack, 0
	.set _ZN9rocsparseL19coomvn_atomic_loopsILj256ELj2ElffffEEvlNS_24const_host_device_scalarIT5_EEPKT1_S6_PKT2_PKT3_PT4_21rocsparse_index_base_b.has_recursion, 0
	.set _ZN9rocsparseL19coomvn_atomic_loopsILj256ELj2ElffffEEvlNS_24const_host_device_scalarIT5_EEPKT1_S6_PKT2_PKT3_PT4_21rocsparse_index_base_b.has_indirect_call, 0
	.section	.AMDGPU.csdata,"",@progbits
; Kernel info:
; codeLenInByte = 2544
; TotalNumSgprs: 46
; NumVgprs: 17
; ScratchSize: 0
; MemoryBound: 0
; FloatMode: 240
; IeeeMode: 1
; LDSByteSize: 3072 bytes/workgroup (compile time only)
; SGPRBlocks: 5
; VGPRBlocks: 4
; NumSGPRsForWavesPerEU: 46
; NumVGPRsForWavesPerEU: 17
; Occupancy: 10
; WaveLimiterHint : 1
; COMPUTE_PGM_RSRC2:SCRATCH_EN: 0
; COMPUTE_PGM_RSRC2:USER_SGPR: 6
; COMPUTE_PGM_RSRC2:TRAP_HANDLER: 0
; COMPUTE_PGM_RSRC2:TGID_X_EN: 1
; COMPUTE_PGM_RSRC2:TGID_Y_EN: 0
; COMPUTE_PGM_RSRC2:TGID_Z_EN: 0
; COMPUTE_PGM_RSRC2:TIDIG_COMP_CNT: 0
	.section	.text._ZN9rocsparseL22coomvn_segmented_loopsILj256EiddddEEvlT0_NS_24const_host_device_scalarIT4_EEPKS1_S6_PKT1_PKT2_PT3_PS1_PS3_21rocsparse_index_base_b,"axG",@progbits,_ZN9rocsparseL22coomvn_segmented_loopsILj256EiddddEEvlT0_NS_24const_host_device_scalarIT4_EEPKS1_S6_PKT1_PKT2_PT3_PS1_PS3_21rocsparse_index_base_b,comdat
	.globl	_ZN9rocsparseL22coomvn_segmented_loopsILj256EiddddEEvlT0_NS_24const_host_device_scalarIT4_EEPKS1_S6_PKT1_PKT2_PT3_PS1_PS3_21rocsparse_index_base_b ; -- Begin function _ZN9rocsparseL22coomvn_segmented_loopsILj256EiddddEEvlT0_NS_24const_host_device_scalarIT4_EEPKS1_S6_PKT1_PKT2_PT3_PS1_PS3_21rocsparse_index_base_b
	.p2align	8
	.type	_ZN9rocsparseL22coomvn_segmented_loopsILj256EiddddEEvlT0_NS_24const_host_device_scalarIT4_EEPKS1_S6_PKT1_PKT2_PT3_PS1_PS3_21rocsparse_index_base_b,@function
_ZN9rocsparseL22coomvn_segmented_loopsILj256EiddddEEvlT0_NS_24const_host_device_scalarIT4_EEPKS1_S6_PKT1_PKT2_PT3_PS1_PS3_21rocsparse_index_base_b: ; @_ZN9rocsparseL22coomvn_segmented_loopsILj256EiddddEEvlT0_NS_24const_host_device_scalarIT4_EEPKS1_S6_PKT1_PKT2_PT3_PS1_PS3_21rocsparse_index_base_b
; %bb.0:
	s_load_dwordx2 s[28:29], s[4:5], 0x50
	s_load_dwordx2 s[0:1], s[4:5], 0x10
	s_waitcnt lgkmcnt(0)
	s_bitcmp1_b32 s29, 0
	s_cselect_b64 s[2:3], -1, 0
	v_mov_b32_e32 v2, s1
	s_and_b64 vcc, exec, s[2:3]
	v_mov_b32_e32 v1, s0
	s_cbranch_vccnz .LBB12_2
; %bb.1:
	v_mov_b32_e32 v2, s1
	v_mov_b32_e32 v1, s0
	flat_load_dwordx2 v[1:2], v[1:2]
.LBB12_2:
	s_waitcnt vmcnt(0) lgkmcnt(0)
	v_cmp_neq_f64_e32 vcc, 0, v[1:2]
	s_and_saveexec_b64 s[0:1], vcc
	s_cbranch_execz .LBB12_89
; %bb.3:
	s_load_dword s33, s[4:5], 0x8
	s_load_dwordx2 s[30:31], s[4:5], 0x0
	s_load_dwordx8 s[36:43], s[4:5], 0x18
	v_mov_b32_e32 v10, 0
	v_mov_b32_e32 v5, 0
	s_waitcnt lgkmcnt(0)
	s_mul_i32 s0, s6, s33
	v_lshl_or_b32 v9, s0, 8, v0
	v_cmp_gt_i64_e32 vcc, s[30:31], v[9:10]
	v_lshlrev_b64 v[7:8], 2, v[9:10]
	v_lshlrev_b64 v[10:11], 3, v[9:10]
	v_mov_b32_e32 v6, 0
	v_mov_b32_e32 v3, -1
	s_and_saveexec_b64 s[0:1], vcc
	s_cbranch_execz .LBB12_5
; %bb.4:
	v_mov_b32_e32 v4, s39
	v_add_co_u32_e32 v3, vcc, s38, v7
	v_addc_co_u32_e32 v4, vcc, v4, v8, vcc
	global_load_dword v3, v[3:4], off glc slc
	v_mov_b32_e32 v5, s41
	v_add_co_u32_e32 v4, vcc, s40, v10
	v_addc_co_u32_e32 v5, vcc, v5, v11, vcc
	global_load_dwordx2 v[5:6], v[4:5], off glc slc
	v_mov_b32_e32 v12, s43
	s_ashr_i32 s29, s28, 31
	s_lshl_b64 s[2:3], s[28:29], 3
	v_mov_b32_e32 v13, s3
	s_waitcnt vmcnt(1)
	v_ashrrev_i32_e32 v4, 31, v3
	v_lshlrev_b64 v[3:4], 3, v[3:4]
	v_add_co_u32_e32 v3, vcc, s42, v3
	v_addc_co_u32_e32 v4, vcc, v12, v4, vcc
	v_subrev_co_u32_e32 v3, vcc, s2, v3
	v_subb_co_u32_e32 v4, vcc, v4, v13, vcc
	global_load_dwordx2 v[3:4], v[3:4], off
	v_mov_b32_e32 v13, s37
	v_add_co_u32_e32 v12, vcc, s36, v7
	v_addc_co_u32_e32 v13, vcc, v13, v8, vcc
	global_load_dword v12, v[12:13], off glc slc
	s_waitcnt vmcnt(1)
	v_mul_f64 v[5:6], v[5:6], v[3:4]
	s_waitcnt vmcnt(0)
	v_subrev_u32_e32 v3, s28, v12
.LBB12_5:
	s_or_b64 exec, exec, s[0:1]
	v_lshlrev_b32_e32 v4, 2, v0
	v_or_b32_e32 v16, 0x800, v4
	v_lshlrev_b32_e32 v17, 3, v0
	v_cmp_eq_u32_e64 s[0:1], 0, v0
	v_cmp_ne_u32_e64 s[2:3], 0, v0
	v_add_u32_e32 v18, -4, v16
	ds_write_b32 v4, v3 offset:2048
	ds_write_b64 v17, v[5:6]
	s_waitcnt lgkmcnt(0)
	s_barrier
	s_and_saveexec_b64 s[8:9], s[2:3]
	s_cbranch_execz .LBB12_9
; %bb.6:
	ds_read_b32 v4, v18
	s_waitcnt lgkmcnt(0)
	v_cmp_eq_u32_e32 vcc, v3, v4
	s_and_saveexec_b64 s[10:11], vcc
	s_cbranch_execz .LBB12_8
; %bb.7:
	v_add_u32_e32 v4, -8, v17
	ds_read_b64 v[12:13], v4
	s_waitcnt lgkmcnt(0)
	v_add_f64 v[5:6], v[5:6], v[12:13]
.LBB12_8:
	s_or_b64 exec, exec, s[10:11]
.LBB12_9:
	s_or_b64 exec, exec, s[8:9]
	v_cmp_lt_u32_e64 s[22:23], 1, v0
	v_add_u32_e32 v19, -8, v16
	s_barrier
	ds_write_b64 v17, v[5:6]
	s_waitcnt lgkmcnt(0)
	s_barrier
	s_and_saveexec_b64 s[8:9], s[22:23]
	s_cbranch_execz .LBB12_13
; %bb.10:
	ds_read_b32 v4, v19
	s_waitcnt lgkmcnt(0)
	v_cmp_eq_u32_e32 vcc, v3, v4
	s_and_saveexec_b64 s[10:11], vcc
	s_cbranch_execz .LBB12_12
; %bb.11:
	v_add_u32_e32 v4, -16, v17
	ds_read_b64 v[12:13], v4
	s_waitcnt lgkmcnt(0)
	v_add_f64 v[5:6], v[5:6], v[12:13]
.LBB12_12:
	s_or_b64 exec, exec, s[10:11]
.LBB12_13:
	s_or_b64 exec, exec, s[8:9]
	v_cmp_lt_u32_e64 s[8:9], 3, v0
	v_add_u32_e32 v20, -16, v16
	s_barrier
	ds_write_b64 v17, v[5:6]
	s_waitcnt lgkmcnt(0)
	s_barrier
	s_and_saveexec_b64 s[10:11], s[8:9]
	s_cbranch_execz .LBB12_17
; %bb.14:
	ds_read_b32 v4, v20
	s_waitcnt lgkmcnt(0)
	v_cmp_eq_u32_e32 vcc, v3, v4
	s_and_saveexec_b64 s[12:13], vcc
	s_cbranch_execz .LBB12_16
; %bb.15:
	v_subrev_u32_e32 v4, 32, v17
	ds_read_b64 v[12:13], v4
	s_waitcnt lgkmcnt(0)
	v_add_f64 v[5:6], v[5:6], v[12:13]
.LBB12_16:
	s_or_b64 exec, exec, s[12:13]
.LBB12_17:
	s_or_b64 exec, exec, s[10:11]
	v_cmp_lt_u32_e64 s[10:11], 7, v0
	v_subrev_u32_e32 v21, 32, v16
	s_barrier
	ds_write_b64 v17, v[5:6]
	s_waitcnt lgkmcnt(0)
	s_barrier
	s_and_saveexec_b64 s[12:13], s[10:11]
	s_cbranch_execz .LBB12_21
; %bb.18:
	ds_read_b32 v4, v21
	s_waitcnt lgkmcnt(0)
	v_cmp_eq_u32_e32 vcc, v3, v4
	s_and_saveexec_b64 s[14:15], vcc
	s_cbranch_execz .LBB12_20
; %bb.19:
	v_subrev_u32_e32 v4, 64, v17
	ds_read_b64 v[12:13], v4
	s_waitcnt lgkmcnt(0)
	v_add_f64 v[5:6], v[5:6], v[12:13]
.LBB12_20:
	s_or_b64 exec, exec, s[14:15]
.LBB12_21:
	s_or_b64 exec, exec, s[12:13]
	v_cmp_lt_u32_e64 s[12:13], 15, v0
	v_subrev_u32_e32 v22, 64, v16
	s_barrier
	ds_write_b64 v17, v[5:6]
	s_waitcnt lgkmcnt(0)
	s_barrier
	s_and_saveexec_b64 s[14:15], s[12:13]
	s_cbranch_execz .LBB12_25
; %bb.22:
	ds_read_b32 v4, v22
	s_waitcnt lgkmcnt(0)
	v_cmp_eq_u32_e32 vcc, v3, v4
	s_and_saveexec_b64 s[16:17], vcc
	s_cbranch_execz .LBB12_24
; %bb.23:
	v_add_u32_e32 v4, 0xffffff80, v17
	ds_read_b64 v[12:13], v4
	s_waitcnt lgkmcnt(0)
	v_add_f64 v[5:6], v[5:6], v[12:13]
.LBB12_24:
	s_or_b64 exec, exec, s[16:17]
.LBB12_25:
	s_or_b64 exec, exec, s[14:15]
	v_cmp_lt_u32_e64 s[14:15], 31, v0
	s_barrier
	ds_write_b64 v17, v[5:6]
	s_waitcnt lgkmcnt(0)
	s_barrier
	s_and_saveexec_b64 s[16:17], s[14:15]
	s_cbranch_execz .LBB12_29
; %bb.26:
	v_add_u32_e32 v4, 0xffffff80, v16
	ds_read_b32 v4, v4
	s_waitcnt lgkmcnt(0)
	v_cmp_eq_u32_e32 vcc, v3, v4
	s_and_saveexec_b64 s[18:19], vcc
	s_cbranch_execz .LBB12_28
; %bb.27:
	v_add_u32_e32 v4, 0xffffff00, v17
	ds_read_b64 v[12:13], v4
	s_waitcnt lgkmcnt(0)
	v_add_f64 v[5:6], v[5:6], v[12:13]
.LBB12_28:
	s_or_b64 exec, exec, s[18:19]
.LBB12_29:
	s_or_b64 exec, exec, s[16:17]
	v_cmp_lt_u32_e64 s[16:17], 63, v0
	s_barrier
	ds_write_b64 v17, v[5:6]
	s_waitcnt lgkmcnt(0)
	s_barrier
	s_and_saveexec_b64 s[18:19], s[16:17]
	s_cbranch_execz .LBB12_33
; %bb.30:
	v_add_u32_e32 v4, 0xffffff00, v16
	ds_read_b32 v4, v4
	s_waitcnt lgkmcnt(0)
	v_cmp_eq_u32_e32 vcc, v3, v4
	s_and_saveexec_b64 s[20:21], vcc
	s_cbranch_execz .LBB12_32
; %bb.31:
	v_add_u32_e32 v4, 0xfffffe00, v17
	ds_read_b64 v[12:13], v4
	s_waitcnt lgkmcnt(0)
	v_add_f64 v[5:6], v[5:6], v[12:13]
.LBB12_32:
	s_or_b64 exec, exec, s[20:21]
.LBB12_33:
	s_or_b64 exec, exec, s[18:19]
	s_load_dwordx2 s[34:35], s[4:5], 0x38
	s_movk_i32 s7, 0x7f
	v_cmp_lt_u32_e64 s[18:19], s7, v0
	s_waitcnt lgkmcnt(0)
	s_barrier
	ds_write_b64 v17, v[5:6]
	s_waitcnt lgkmcnt(0)
	s_barrier
	s_and_saveexec_b64 s[20:21], s[18:19]
	s_cbranch_execz .LBB12_37
; %bb.34:
	v_add_u32_e32 v4, 0xfffffe00, v16
	ds_read_b32 v4, v4
	s_waitcnt lgkmcnt(0)
	v_cmp_eq_u32_e32 vcc, v3, v4
	s_and_saveexec_b64 s[24:25], vcc
	s_cbranch_execz .LBB12_36
; %bb.35:
	v_add_u32_e32 v4, 0xfffffc00, v17
	ds_read_b64 v[12:13], v4
	s_waitcnt lgkmcnt(0)
	v_add_f64 v[5:6], v[5:6], v[12:13]
.LBB12_36:
	s_or_b64 exec, exec, s[24:25]
.LBB12_37:
	s_or_b64 exec, exec, s[20:21]
	s_movk_i32 s7, 0xff
	v_cmp_gt_u32_e64 s[20:21], s7, v0
	s_barrier
	ds_write_b64 v17, v[5:6]
	s_waitcnt lgkmcnt(0)
	s_barrier
	s_and_saveexec_b64 s[26:27], s[20:21]
	s_cbranch_execz .LBB12_40
; %bb.38:
	ds_read_b32 v4, v16 offset:4
	v_cmp_lt_i32_e64 s[24:25], -1, v3
	s_waitcnt lgkmcnt(0)
	v_cmp_ne_u32_e32 vcc, v3, v4
	s_and_b64 s[24:25], s[24:25], vcc
	s_and_b64 exec, exec, s[24:25]
	s_cbranch_execz .LBB12_40
; %bb.39:
	v_mov_b32_e32 v4, 0
	v_lshlrev_b64 v[12:13], 3, v[3:4]
	v_mov_b32_e32 v4, s35
	v_add_co_u32_e32 v12, vcc, s34, v12
	v_addc_co_u32_e32 v13, vcc, v4, v13, vcc
	global_load_dwordx2 v[14:15], v[12:13], off
	s_waitcnt vmcnt(0)
	v_fma_f64 v[14:15], v[1:2], v[5:6], v[14:15]
	global_store_dwordx2 v[12:13], v[14:15], off
.LBB12_40:
	s_or_b64 exec, exec, s[26:27]
	s_load_dwordx4 s[24:27], s[4:5], 0x40
	s_cmp_lt_i32 s33, 2
	s_cbranch_scc1 .LBB12_87
; %bb.41:
	s_ashr_i32 s29, s28, 31
	s_lshl_b64 s[4:5], s[28:29], 3
	s_sub_u32 s7, s42, s4
	s_movk_i32 s4, 0x400
	v_add_co_u32_e32 v3, vcc, s4, v7
	v_addc_co_u32_e32 v4, vcc, 0, v8, vcc
	v_mov_b32_e32 v5, s39
	v_add_co_u32_e32 v7, vcc, s38, v3
	v_addc_co_u32_e32 v8, vcc, v5, v4, vcc
	v_mov_b32_e32 v5, s41
	;; [unrolled: 3-line block ×3, first 2 shown]
	v_add_co_u32_e32 v10, vcc, s36, v3
	v_addc_co_u32_e32 v11, vcc, v11, v4, vcc
	s_movk_i32 s4, 0x800
	v_add_co_u32_e32 v12, vcc, s4, v6
	v_addc_co_u32_e32 v13, vcc, 0, v5, vcc
	s_movk_i32 s4, 0x100
	v_add_co_u32_e32 v14, vcc, s4, v9
	s_subb_u32 s29, s43, s5
	v_subrev_u32_e32 v23, 64, v17
	v_add_u32_e32 v24, 0xffffff80, v17
	v_add_u32_e32 v25, 0xffffff80, v16
	;; [unrolled: 1-line block ×6, first 2 shown]
	v_addc_co_u32_e64 v15, s[4:5], 0, 0, vcc
	s_add_i32 s33, s33, -1
	s_mov_b32 s37, 0
	v_add_u32_e32 v9, 0xfffffc00, v17
	v_mov_b32_e32 v4, 0
	s_branch .LBB12_43
.LBB12_42:                              ;   in Loop: Header=BB12_43 Depth=1
	s_or_b64 exec, exec, s[38:39]
	v_add_co_u32_e32 v7, vcc, 0x400, v7
	v_addc_co_u32_e32 v8, vcc, 0, v8, vcc
	v_add_co_u32_e32 v12, vcc, 0x800, v12
	v_addc_co_u32_e32 v13, vcc, 0, v13, vcc
	;; [unrolled: 2-line block ×3, first 2 shown]
	v_add_co_u32_e32 v14, vcc, 0x100, v14
	s_add_i32 s33, s33, -1
	s_cmp_eq_u32 s33, 0
	v_addc_co_u32_e32 v15, vcc, 0, v15, vcc
	s_cbranch_scc1 .LBB12_87
.LBB12_43:                              ; =>This Inner Loop Header: Depth=1
	v_cmp_gt_i64_e32 vcc, s[30:31], v[14:15]
	v_mov_b32_e32 v5, 0
	v_mov_b32_e32 v6, 0
	v_mov_b32_e32 v3, -1
	s_and_saveexec_b64 s[4:5], vcc
	s_cbranch_execz .LBB12_45
; %bb.44:                               ;   in Loop: Header=BB12_43 Depth=1
	global_load_dword v5, v[7:8], off glc slc
	global_load_dwordx2 v[30:31], v[12:13], off glc slc
	v_mov_b32_e32 v3, s29
	s_waitcnt vmcnt(1)
	v_ashrrev_i32_e32 v6, 31, v5
	v_lshlrev_b64 v[5:6], 3, v[5:6]
	v_add_co_u32_e32 v5, vcc, s7, v5
	v_addc_co_u32_e32 v6, vcc, v3, v6, vcc
	global_load_dwordx2 v[32:33], v[5:6], off
	global_load_dword v3, v[10:11], off glc slc
	s_waitcnt vmcnt(1)
	v_mul_f64 v[5:6], v[30:31], v[32:33]
	s_waitcnt vmcnt(0)
	v_subrev_u32_e32 v3, s28, v3
.LBB12_45:                              ;   in Loop: Header=BB12_43 Depth=1
	s_or_b64 exec, exec, s[4:5]
	s_and_saveexec_b64 s[4:5], s[0:1]
	s_cbranch_execz .LBB12_52
; %bb.46:                               ;   in Loop: Header=BB12_43 Depth=1
	ds_read_b32 v30, v4 offset:3068
	s_waitcnt lgkmcnt(0)
	v_readfirstlane_b32 s36, v30
	v_cmp_ne_u32_e32 vcc, v3, v30
	s_and_saveexec_b64 s[38:39], vcc
	s_xor_b64 s[38:39], exec, s[38:39]
	s_cbranch_execz .LBB12_49
; %bb.47:                               ;   in Loop: Header=BB12_43 Depth=1
	s_cmp_lt_i32 s36, 0
	s_cbranch_scc1 .LBB12_49
; %bb.48:                               ;   in Loop: Header=BB12_43 Depth=1
	s_lshl_b64 s[40:41], s[36:37], 3
	s_add_u32 s40, s34, s40
	s_addc_u32 s41, s35, s41
	global_load_dwordx2 v[30:31], v4, s[40:41]
	ds_read_b64 v[32:33], v4 offset:2040
	s_waitcnt vmcnt(0) lgkmcnt(0)
	v_fma_f64 v[30:31], v[1:2], v[32:33], v[30:31]
	global_store_dwordx2 v4, v[30:31], s[40:41]
.LBB12_49:                              ;   in Loop: Header=BB12_43 Depth=1
	s_andn2_saveexec_b64 s[38:39], s[38:39]
	s_cbranch_execz .LBB12_51
; %bb.50:                               ;   in Loop: Header=BB12_43 Depth=1
	ds_read_b64 v[30:31], v4 offset:2040
	s_waitcnt lgkmcnt(0)
	v_add_f64 v[5:6], v[5:6], v[30:31]
.LBB12_51:                              ;   in Loop: Header=BB12_43 Depth=1
	s_or_b64 exec, exec, s[38:39]
.LBB12_52:                              ;   in Loop: Header=BB12_43 Depth=1
	s_or_b64 exec, exec, s[4:5]
	s_waitcnt vmcnt(0) lgkmcnt(0)
	s_barrier
	ds_write_b32 v16, v3
	ds_write_b64 v17, v[5:6]
	s_waitcnt lgkmcnt(0)
	s_barrier
	s_and_saveexec_b64 s[4:5], s[2:3]
	s_cbranch_execz .LBB12_56
; %bb.53:                               ;   in Loop: Header=BB12_43 Depth=1
	ds_read_b32 v30, v18
	s_waitcnt lgkmcnt(0)
	v_cmp_eq_u32_e32 vcc, v3, v30
	s_and_saveexec_b64 s[38:39], vcc
	s_cbranch_execz .LBB12_55
; %bb.54:                               ;   in Loop: Header=BB12_43 Depth=1
	v_add_u32_e32 v30, -8, v17
	ds_read_b64 v[30:31], v30
	s_waitcnt lgkmcnt(0)
	v_add_f64 v[5:6], v[5:6], v[30:31]
.LBB12_55:                              ;   in Loop: Header=BB12_43 Depth=1
	s_or_b64 exec, exec, s[38:39]
.LBB12_56:                              ;   in Loop: Header=BB12_43 Depth=1
	s_or_b64 exec, exec, s[4:5]
	s_barrier
	ds_write_b64 v17, v[5:6]
	s_waitcnt lgkmcnt(0)
	s_barrier
	s_and_saveexec_b64 s[4:5], s[22:23]
	s_cbranch_execz .LBB12_60
; %bb.57:                               ;   in Loop: Header=BB12_43 Depth=1
	ds_read_b32 v30, v19
	s_waitcnt lgkmcnt(0)
	v_cmp_eq_u32_e32 vcc, v3, v30
	s_and_saveexec_b64 s[38:39], vcc
	s_cbranch_execz .LBB12_59
; %bb.58:                               ;   in Loop: Header=BB12_43 Depth=1
	v_add_u32_e32 v30, -16, v17
	ds_read_b64 v[30:31], v30
	s_waitcnt lgkmcnt(0)
	v_add_f64 v[5:6], v[5:6], v[30:31]
.LBB12_59:                              ;   in Loop: Header=BB12_43 Depth=1
	s_or_b64 exec, exec, s[38:39]
.LBB12_60:                              ;   in Loop: Header=BB12_43 Depth=1
	s_or_b64 exec, exec, s[4:5]
	s_barrier
	ds_write_b64 v17, v[5:6]
	s_waitcnt lgkmcnt(0)
	s_barrier
	s_and_saveexec_b64 s[4:5], s[8:9]
	s_cbranch_execz .LBB12_64
; %bb.61:                               ;   in Loop: Header=BB12_43 Depth=1
	ds_read_b32 v30, v20
	s_waitcnt lgkmcnt(0)
	v_cmp_eq_u32_e32 vcc, v3, v30
	s_and_saveexec_b64 s[38:39], vcc
	s_cbranch_execz .LBB12_63
; %bb.62:                               ;   in Loop: Header=BB12_43 Depth=1
	v_subrev_u32_e32 v30, 32, v17
	ds_read_b64 v[30:31], v30
	s_waitcnt lgkmcnt(0)
	v_add_f64 v[5:6], v[5:6], v[30:31]
.LBB12_63:                              ;   in Loop: Header=BB12_43 Depth=1
	s_or_b64 exec, exec, s[38:39]
.LBB12_64:                              ;   in Loop: Header=BB12_43 Depth=1
	s_or_b64 exec, exec, s[4:5]
	s_barrier
	ds_write_b64 v17, v[5:6]
	s_waitcnt lgkmcnt(0)
	s_barrier
	s_and_saveexec_b64 s[4:5], s[10:11]
	s_cbranch_execz .LBB12_68
; %bb.65:                               ;   in Loop: Header=BB12_43 Depth=1
	ds_read_b32 v30, v21
	s_waitcnt lgkmcnt(0)
	v_cmp_eq_u32_e32 vcc, v3, v30
	s_and_saveexec_b64 s[38:39], vcc
	s_cbranch_execz .LBB12_67
; %bb.66:                               ;   in Loop: Header=BB12_43 Depth=1
	ds_read_b64 v[30:31], v23
	s_waitcnt lgkmcnt(0)
	v_add_f64 v[5:6], v[5:6], v[30:31]
.LBB12_67:                              ;   in Loop: Header=BB12_43 Depth=1
	s_or_b64 exec, exec, s[38:39]
.LBB12_68:                              ;   in Loop: Header=BB12_43 Depth=1
	s_or_b64 exec, exec, s[4:5]
	s_barrier
	ds_write_b64 v17, v[5:6]
	s_waitcnt lgkmcnt(0)
	s_barrier
	s_and_saveexec_b64 s[4:5], s[12:13]
	s_cbranch_execz .LBB12_72
; %bb.69:                               ;   in Loop: Header=BB12_43 Depth=1
	ds_read_b32 v30, v22
	s_waitcnt lgkmcnt(0)
	v_cmp_eq_u32_e32 vcc, v3, v30
	s_and_saveexec_b64 s[38:39], vcc
	s_cbranch_execz .LBB12_71
; %bb.70:                               ;   in Loop: Header=BB12_43 Depth=1
	ds_read_b64 v[30:31], v24
	s_waitcnt lgkmcnt(0)
	v_add_f64 v[5:6], v[5:6], v[30:31]
.LBB12_71:                              ;   in Loop: Header=BB12_43 Depth=1
	s_or_b64 exec, exec, s[38:39]
.LBB12_72:                              ;   in Loop: Header=BB12_43 Depth=1
	;; [unrolled: 20-line block ×5, first 2 shown]
	s_or_b64 exec, exec, s[4:5]
	s_barrier
	ds_write_b64 v17, v[5:6]
	s_waitcnt lgkmcnt(0)
	s_barrier
	s_and_saveexec_b64 s[38:39], s[20:21]
	s_cbranch_execz .LBB12_42
; %bb.85:                               ;   in Loop: Header=BB12_43 Depth=1
	ds_read_b32 v30, v16 offset:4
	v_cmp_lt_i32_e64 s[4:5], -1, v3
	s_waitcnt lgkmcnt(0)
	v_cmp_ne_u32_e32 vcc, v3, v30
	s_and_b64 s[4:5], s[4:5], vcc
	s_and_b64 exec, exec, s[4:5]
	s_cbranch_execz .LBB12_42
; %bb.86:                               ;   in Loop: Header=BB12_43 Depth=1
	v_lshlrev_b64 v[30:31], 3, v[3:4]
	v_mov_b32_e32 v32, s35
	v_add_co_u32_e32 v30, vcc, s34, v30
	v_addc_co_u32_e32 v31, vcc, v32, v31, vcc
	global_load_dwordx2 v[32:33], v[30:31], off
	s_waitcnt vmcnt(0)
	v_fma_f64 v[32:33], v[1:2], v[5:6], v[32:33]
	global_store_dwordx2 v[30:31], v[32:33], off
	s_branch .LBB12_42
.LBB12_87:
	s_movk_i32 s0, 0xff
	v_cmp_eq_u32_e32 vcc, s0, v0
	s_and_b64 exec, exec, vcc
	s_cbranch_execz .LBB12_89
; %bb.88:
	v_mul_f64 v[0:1], v[1:2], v[5:6]
	s_mov_b32 s7, 0
	s_lshl_b64 s[0:1], s[6:7], 2
	s_waitcnt lgkmcnt(0)
	s_add_u32 s0, s24, s0
	s_addc_u32 s1, s25, s1
	s_lshl_b64 s[2:3], s[6:7], 3
	v_mov_b32_e32 v2, 0
	s_add_u32 s2, s26, s2
	s_addc_u32 s3, s27, s3
	global_store_dword v2, v3, s[0:1] glc slc
	global_store_dwordx2 v2, v[0:1], s[2:3] glc slc
.LBB12_89:
	s_endpgm
	.section	.rodata,"a",@progbits
	.p2align	6, 0x0
	.amdhsa_kernel _ZN9rocsparseL22coomvn_segmented_loopsILj256EiddddEEvlT0_NS_24const_host_device_scalarIT4_EEPKS1_S6_PKT1_PKT2_PT3_PS1_PS3_21rocsparse_index_base_b
		.amdhsa_group_segment_fixed_size 3072
		.amdhsa_private_segment_fixed_size 0
		.amdhsa_kernarg_size 88
		.amdhsa_user_sgpr_count 6
		.amdhsa_user_sgpr_private_segment_buffer 1
		.amdhsa_user_sgpr_dispatch_ptr 0
		.amdhsa_user_sgpr_queue_ptr 0
		.amdhsa_user_sgpr_kernarg_segment_ptr 1
		.amdhsa_user_sgpr_dispatch_id 0
		.amdhsa_user_sgpr_flat_scratch_init 0
		.amdhsa_user_sgpr_private_segment_size 0
		.amdhsa_uses_dynamic_stack 0
		.amdhsa_system_sgpr_private_segment_wavefront_offset 0
		.amdhsa_system_sgpr_workgroup_id_x 1
		.amdhsa_system_sgpr_workgroup_id_y 0
		.amdhsa_system_sgpr_workgroup_id_z 0
		.amdhsa_system_sgpr_workgroup_info 0
		.amdhsa_system_vgpr_workitem_id 0
		.amdhsa_next_free_vgpr 34
		.amdhsa_next_free_sgpr 44
		.amdhsa_reserve_vcc 1
		.amdhsa_reserve_flat_scratch 0
		.amdhsa_float_round_mode_32 0
		.amdhsa_float_round_mode_16_64 0
		.amdhsa_float_denorm_mode_32 3
		.amdhsa_float_denorm_mode_16_64 3
		.amdhsa_dx10_clamp 1
		.amdhsa_ieee_mode 1
		.amdhsa_fp16_overflow 0
		.amdhsa_exception_fp_ieee_invalid_op 0
		.amdhsa_exception_fp_denorm_src 0
		.amdhsa_exception_fp_ieee_div_zero 0
		.amdhsa_exception_fp_ieee_overflow 0
		.amdhsa_exception_fp_ieee_underflow 0
		.amdhsa_exception_fp_ieee_inexact 0
		.amdhsa_exception_int_div_zero 0
	.end_amdhsa_kernel
	.section	.text._ZN9rocsparseL22coomvn_segmented_loopsILj256EiddddEEvlT0_NS_24const_host_device_scalarIT4_EEPKS1_S6_PKT1_PKT2_PT3_PS1_PS3_21rocsparse_index_base_b,"axG",@progbits,_ZN9rocsparseL22coomvn_segmented_loopsILj256EiddddEEvlT0_NS_24const_host_device_scalarIT4_EEPKS1_S6_PKT1_PKT2_PT3_PS1_PS3_21rocsparse_index_base_b,comdat
.Lfunc_end12:
	.size	_ZN9rocsparseL22coomvn_segmented_loopsILj256EiddddEEvlT0_NS_24const_host_device_scalarIT4_EEPKS1_S6_PKT1_PKT2_PT3_PS1_PS3_21rocsparse_index_base_b, .Lfunc_end12-_ZN9rocsparseL22coomvn_segmented_loopsILj256EiddddEEvlT0_NS_24const_host_device_scalarIT4_EEPKS1_S6_PKT1_PKT2_PT3_PS1_PS3_21rocsparse_index_base_b
                                        ; -- End function
	.set _ZN9rocsparseL22coomvn_segmented_loopsILj256EiddddEEvlT0_NS_24const_host_device_scalarIT4_EEPKS1_S6_PKT1_PKT2_PT3_PS1_PS3_21rocsparse_index_base_b.num_vgpr, 34
	.set _ZN9rocsparseL22coomvn_segmented_loopsILj256EiddddEEvlT0_NS_24const_host_device_scalarIT4_EEPKS1_S6_PKT1_PKT2_PT3_PS1_PS3_21rocsparse_index_base_b.num_agpr, 0
	.set _ZN9rocsparseL22coomvn_segmented_loopsILj256EiddddEEvlT0_NS_24const_host_device_scalarIT4_EEPKS1_S6_PKT1_PKT2_PT3_PS1_PS3_21rocsparse_index_base_b.numbered_sgpr, 44
	.set _ZN9rocsparseL22coomvn_segmented_loopsILj256EiddddEEvlT0_NS_24const_host_device_scalarIT4_EEPKS1_S6_PKT1_PKT2_PT3_PS1_PS3_21rocsparse_index_base_b.num_named_barrier, 0
	.set _ZN9rocsparseL22coomvn_segmented_loopsILj256EiddddEEvlT0_NS_24const_host_device_scalarIT4_EEPKS1_S6_PKT1_PKT2_PT3_PS1_PS3_21rocsparse_index_base_b.private_seg_size, 0
	.set _ZN9rocsparseL22coomvn_segmented_loopsILj256EiddddEEvlT0_NS_24const_host_device_scalarIT4_EEPKS1_S6_PKT1_PKT2_PT3_PS1_PS3_21rocsparse_index_base_b.uses_vcc, 1
	.set _ZN9rocsparseL22coomvn_segmented_loopsILj256EiddddEEvlT0_NS_24const_host_device_scalarIT4_EEPKS1_S6_PKT1_PKT2_PT3_PS1_PS3_21rocsparse_index_base_b.uses_flat_scratch, 0
	.set _ZN9rocsparseL22coomvn_segmented_loopsILj256EiddddEEvlT0_NS_24const_host_device_scalarIT4_EEPKS1_S6_PKT1_PKT2_PT3_PS1_PS3_21rocsparse_index_base_b.has_dyn_sized_stack, 0
	.set _ZN9rocsparseL22coomvn_segmented_loopsILj256EiddddEEvlT0_NS_24const_host_device_scalarIT4_EEPKS1_S6_PKT1_PKT2_PT3_PS1_PS3_21rocsparse_index_base_b.has_recursion, 0
	.set _ZN9rocsparseL22coomvn_segmented_loopsILj256EiddddEEvlT0_NS_24const_host_device_scalarIT4_EEPKS1_S6_PKT1_PKT2_PT3_PS1_PS3_21rocsparse_index_base_b.has_indirect_call, 0
	.section	.AMDGPU.csdata,"",@progbits
; Kernel info:
; codeLenInByte = 2620
; TotalNumSgprs: 48
; NumVgprs: 34
; ScratchSize: 0
; MemoryBound: 1
; FloatMode: 240
; IeeeMode: 1
; LDSByteSize: 3072 bytes/workgroup (compile time only)
; SGPRBlocks: 5
; VGPRBlocks: 8
; NumSGPRsForWavesPerEU: 48
; NumVGPRsForWavesPerEU: 34
; Occupancy: 7
; WaveLimiterHint : 1
; COMPUTE_PGM_RSRC2:SCRATCH_EN: 0
; COMPUTE_PGM_RSRC2:USER_SGPR: 6
; COMPUTE_PGM_RSRC2:TRAP_HANDLER: 0
; COMPUTE_PGM_RSRC2:TGID_X_EN: 1
; COMPUTE_PGM_RSRC2:TGID_Y_EN: 0
; COMPUTE_PGM_RSRC2:TGID_Z_EN: 0
; COMPUTE_PGM_RSRC2:TIDIG_COMP_CNT: 0
	.section	.text._ZN9rocsparseL29coomvn_segmented_loops_reduceILj256EiddEEvT0_NS_24const_host_device_scalarIT2_EEPKS1_PKS3_PT1_b,"axG",@progbits,_ZN9rocsparseL29coomvn_segmented_loops_reduceILj256EiddEEvT0_NS_24const_host_device_scalarIT2_EEPKS1_PKS3_PT1_b,comdat
	.globl	_ZN9rocsparseL29coomvn_segmented_loops_reduceILj256EiddEEvT0_NS_24const_host_device_scalarIT2_EEPKS1_PKS3_PT1_b ; -- Begin function _ZN9rocsparseL29coomvn_segmented_loops_reduceILj256EiddEEvT0_NS_24const_host_device_scalarIT2_EEPKS1_PKS3_PT1_b
	.p2align	8
	.type	_ZN9rocsparseL29coomvn_segmented_loops_reduceILj256EiddEEvT0_NS_24const_host_device_scalarIT2_EEPKS1_PKS3_PT1_b,@function
_ZN9rocsparseL29coomvn_segmented_loops_reduceILj256EiddEEvT0_NS_24const_host_device_scalarIT2_EEPKS1_PKS3_PT1_b: ; @_ZN9rocsparseL29coomvn_segmented_loops_reduceILj256EiddEEvT0_NS_24const_host_device_scalarIT2_EEPKS1_PKS3_PT1_b
; %bb.0:
	s_load_dword s2, s[4:5], 0x28
	s_load_dwordx2 s[0:1], s[4:5], 0x8
	s_waitcnt lgkmcnt(0)
	s_bitcmp1_b32 s2, 0
	s_cselect_b64 s[2:3], -1, 0
	v_mov_b32_e32 v2, s1
	s_and_b64 vcc, exec, s[2:3]
	v_mov_b32_e32 v1, s0
	s_cbranch_vccnz .LBB13_2
; %bb.1:
	v_mov_b32_e32 v2, s1
	v_mov_b32_e32 v1, s0
	flat_load_dwordx2 v[1:2], v[1:2]
.LBB13_2:
	s_waitcnt vmcnt(0) lgkmcnt(0)
	v_cmp_neq_f64_e32 vcc, 0, v[1:2]
	s_and_saveexec_b64 s[0:1], vcc
	s_cbranch_execz .LBB13_44
; %bb.3:
	s_load_dword s28, s[4:5], 0x0
	s_waitcnt lgkmcnt(0)
	s_cmp_lt_i32 s28, 1
	s_cbranch_scc1 .LBB13_44
; %bb.4:
	v_mov_b32_e32 v1, 0x800
	v_subrev_co_u32_e32 v2, vcc, 1, v0
	s_load_dwordx4 s[8:11], s[4:5], 0x10
	s_load_dwordx2 s[6:7], s[4:5], 0x20
	s_xor_b64 s[4:5], vcc, -1
	v_lshl_add_u32 v10, v2, 2, v1
	v_subrev_co_u32_e32 v2, vcc, 2, v0
	s_xor_b64 s[12:13], vcc, -1
	v_lshl_add_u32 v11, v2, 2, v1
	v_subrev_co_u32_e32 v2, vcc, 4, v0
	;; [unrolled: 3-line block ×6, first 2 shown]
	s_movk_i32 s0, 0x80
	v_lshlrev_b32_e32 v9, 3, v0
	s_xor_b64 s[22:23], vcc, -1
	v_lshl_add_u32 v18, v2, 2, v1
	v_subrev_co_u32_e32 v2, vcc, s0, v0
	s_movk_i32 s0, 0xff
	v_lshl_or_b32 v8, v0, 2, v1
	v_add_u32_e32 v15, 0xffffff80, v9
	v_add_u32_e32 v17, 0xffffff00, v9
	;; [unrolled: 1-line block ×3, first 2 shown]
	s_xor_b64 s[24:25], vcc, -1
	v_lshl_add_u32 v20, v2, 2, v1
	v_add_u32_e32 v21, 0xfffffc00, v9
	v_cmp_gt_u32_e32 vcc, s0, v0
	s_mov_b32 s29, 0
	v_mov_b32_e32 v2, 0
	s_branch .LBB13_6
.LBB13_5:                               ;   in Loop: Header=BB13_6 Depth=1
	s_or_b64 exec, exec, s[2:3]
	s_addk_i32 s29, 0x100
	s_cmp_lt_i32 s29, s28
	s_waitcnt vmcnt(0)
	s_barrier
	s_cbranch_scc0 .LBB13_44
.LBB13_6:                               ; =>This Inner Loop Header: Depth=1
	v_add_u32_e32 v5, s29, v0
	v_mov_b32_e32 v3, 0
	v_mov_b32_e32 v6, 0
	v_cmp_gt_i32_e64 s[0:1], s28, v5
	v_mov_b32_e32 v4, 0
	v_mov_b32_e32 v7, 0
	v_mov_b32_e32 v1, -1
	s_and_saveexec_b64 s[2:3], s[0:1]
	s_cbranch_execz .LBB13_8
; %bb.7:                                ;   in Loop: Header=BB13_6 Depth=1
	v_ashrrev_i32_e32 v6, 31, v5
	v_lshlrev_b64 v[22:23], 3, v[5:6]
	s_waitcnt lgkmcnt(0)
	v_mov_b32_e32 v1, s11
	v_add_co_u32_e64 v22, s[0:1], s10, v22
	v_lshlrev_b64 v[5:6], 2, v[5:6]
	v_addc_co_u32_e64 v23, s[0:1], v1, v23, s[0:1]
	v_mov_b32_e32 v1, s9
	v_add_co_u32_e64 v5, s[0:1], s8, v5
	v_addc_co_u32_e64 v6, s[0:1], v1, v6, s[0:1]
	global_load_dword v1, v[5:6], off
	s_nop 0
	global_load_dwordx2 v[6:7], v[22:23], off
.LBB13_8:                               ;   in Loop: Header=BB13_6 Depth=1
	s_or_b64 exec, exec, s[2:3]
	s_waitcnt vmcnt(1)
	ds_write_b32 v8, v1
	s_waitcnt vmcnt(0)
	ds_write_b64 v9, v[6:7]
	s_waitcnt lgkmcnt(0)
	s_barrier
	s_and_saveexec_b64 s[2:3], s[4:5]
	s_cbranch_execz .LBB13_12
; %bb.9:                                ;   in Loop: Header=BB13_6 Depth=1
	ds_read2_b32 v[5:6], v10 offset1:1
	v_mov_b32_e32 v3, 0
	v_mov_b32_e32 v4, 0
	s_waitcnt lgkmcnt(0)
	v_cmp_eq_u32_e64 s[0:1], v6, v5
	s_and_saveexec_b64 s[26:27], s[0:1]
; %bb.10:                               ;   in Loop: Header=BB13_6 Depth=1
	v_add_u32_e32 v1, -8, v9
	ds_read_b64 v[3:4], v1
; %bb.11:                               ;   in Loop: Header=BB13_6 Depth=1
	s_or_b64 exec, exec, s[26:27]
.LBB13_12:                              ;   in Loop: Header=BB13_6 Depth=1
	s_or_b64 exec, exec, s[2:3]
	s_waitcnt lgkmcnt(0)
	s_barrier
	ds_read_b64 v[5:6], v9
	s_waitcnt lgkmcnt(0)
	v_add_f64 v[22:23], v[3:4], v[5:6]
	v_mov_b32_e32 v3, 0
	v_mov_b32_e32 v5, 0
	;; [unrolled: 1-line block ×4, first 2 shown]
	ds_write_b64 v9, v[22:23]
	s_waitcnt lgkmcnt(0)
	s_barrier
	s_and_saveexec_b64 s[2:3], s[12:13]
	s_cbranch_execz .LBB13_16
; %bb.13:                               ;   in Loop: Header=BB13_6 Depth=1
	ds_read_b32 v1, v8
	ds_read_b32 v7, v11
	v_mov_b32_e32 v5, 0
	v_mov_b32_e32 v6, 0
	s_waitcnt lgkmcnt(0)
	v_cmp_eq_u32_e64 s[0:1], v1, v7
	s_and_saveexec_b64 s[26:27], s[0:1]
; %bb.14:                               ;   in Loop: Header=BB13_6 Depth=1
	v_add_u32_e32 v1, -16, v9
	ds_read_b64 v[5:6], v1
; %bb.15:                               ;   in Loop: Header=BB13_6 Depth=1
	s_or_b64 exec, exec, s[26:27]
.LBB13_16:                              ;   in Loop: Header=BB13_6 Depth=1
	s_or_b64 exec, exec, s[2:3]
	s_waitcnt lgkmcnt(0)
	s_barrier
	ds_read_b64 v[22:23], v9
	s_waitcnt lgkmcnt(0)
	v_add_f64 v[5:6], v[5:6], v[22:23]
	ds_write_b64 v9, v[5:6]
	s_waitcnt lgkmcnt(0)
	s_barrier
	s_and_saveexec_b64 s[2:3], s[14:15]
	s_cbranch_execz .LBB13_20
; %bb.17:                               ;   in Loop: Header=BB13_6 Depth=1
	ds_read_b32 v1, v8
	ds_read_b32 v5, v12
	v_mov_b32_e32 v3, 0
	v_mov_b32_e32 v4, 0
	s_waitcnt lgkmcnt(0)
	v_cmp_eq_u32_e64 s[0:1], v1, v5
	s_and_saveexec_b64 s[26:27], s[0:1]
; %bb.18:                               ;   in Loop: Header=BB13_6 Depth=1
	v_subrev_u32_e32 v1, 32, v9
	ds_read_b64 v[3:4], v1
; %bb.19:                               ;   in Loop: Header=BB13_6 Depth=1
	s_or_b64 exec, exec, s[26:27]
.LBB13_20:                              ;   in Loop: Header=BB13_6 Depth=1
	s_or_b64 exec, exec, s[2:3]
	s_waitcnt lgkmcnt(0)
	s_barrier
	ds_read_b64 v[5:6], v9
	s_waitcnt lgkmcnt(0)
	v_add_f64 v[22:23], v[3:4], v[5:6]
	v_mov_b32_e32 v3, 0
	v_mov_b32_e32 v5, 0
	;; [unrolled: 1-line block ×4, first 2 shown]
	ds_write_b64 v9, v[22:23]
	s_waitcnt lgkmcnt(0)
	s_barrier
	s_and_saveexec_b64 s[2:3], s[16:17]
	s_cbranch_execz .LBB13_24
; %bb.21:                               ;   in Loop: Header=BB13_6 Depth=1
	ds_read_b32 v1, v8
	ds_read_b32 v7, v13
	v_mov_b32_e32 v5, 0
	v_mov_b32_e32 v6, 0
	s_waitcnt lgkmcnt(0)
	v_cmp_eq_u32_e64 s[0:1], v1, v7
	s_and_saveexec_b64 s[26:27], s[0:1]
; %bb.22:                               ;   in Loop: Header=BB13_6 Depth=1
	v_subrev_u32_e32 v1, 64, v9
	ds_read_b64 v[5:6], v1
; %bb.23:                               ;   in Loop: Header=BB13_6 Depth=1
	s_or_b64 exec, exec, s[26:27]
.LBB13_24:                              ;   in Loop: Header=BB13_6 Depth=1
	s_or_b64 exec, exec, s[2:3]
	s_waitcnt lgkmcnt(0)
	s_barrier
	ds_read_b64 v[22:23], v9
	s_waitcnt lgkmcnt(0)
	v_add_f64 v[5:6], v[5:6], v[22:23]
	ds_write_b64 v9, v[5:6]
	s_waitcnt lgkmcnt(0)
	s_barrier
	s_and_saveexec_b64 s[2:3], s[18:19]
	s_cbranch_execz .LBB13_28
; %bb.25:                               ;   in Loop: Header=BB13_6 Depth=1
	ds_read_b32 v1, v8
	ds_read_b32 v5, v14
	v_mov_b32_e32 v3, 0
	v_mov_b32_e32 v4, 0
	s_waitcnt lgkmcnt(0)
	v_cmp_eq_u32_e64 s[0:1], v1, v5
	s_and_saveexec_b64 s[26:27], s[0:1]
; %bb.26:                               ;   in Loop: Header=BB13_6 Depth=1
	ds_read_b64 v[3:4], v15
; %bb.27:                               ;   in Loop: Header=BB13_6 Depth=1
	s_or_b64 exec, exec, s[26:27]
.LBB13_28:                              ;   in Loop: Header=BB13_6 Depth=1
	s_or_b64 exec, exec, s[2:3]
	s_waitcnt lgkmcnt(0)
	s_barrier
	ds_read_b64 v[5:6], v9
	s_waitcnt lgkmcnt(0)
	v_add_f64 v[22:23], v[3:4], v[5:6]
	v_mov_b32_e32 v3, 0
	v_mov_b32_e32 v5, 0
	;; [unrolled: 1-line block ×4, first 2 shown]
	ds_write_b64 v9, v[22:23]
	s_waitcnt lgkmcnt(0)
	s_barrier
	s_and_saveexec_b64 s[2:3], s[20:21]
	s_cbranch_execz .LBB13_32
; %bb.29:                               ;   in Loop: Header=BB13_6 Depth=1
	ds_read_b32 v1, v8
	ds_read_b32 v7, v16
	v_mov_b32_e32 v5, 0
	v_mov_b32_e32 v6, 0
	s_waitcnt lgkmcnt(0)
	v_cmp_eq_u32_e64 s[0:1], v1, v7
	s_and_saveexec_b64 s[26:27], s[0:1]
; %bb.30:                               ;   in Loop: Header=BB13_6 Depth=1
	ds_read_b64 v[5:6], v17
; %bb.31:                               ;   in Loop: Header=BB13_6 Depth=1
	s_or_b64 exec, exec, s[26:27]
.LBB13_32:                              ;   in Loop: Header=BB13_6 Depth=1
	s_or_b64 exec, exec, s[2:3]
	s_waitcnt lgkmcnt(0)
	s_barrier
	ds_read_b64 v[22:23], v9
	s_waitcnt lgkmcnt(0)
	v_add_f64 v[5:6], v[5:6], v[22:23]
	ds_write_b64 v9, v[5:6]
	s_waitcnt lgkmcnt(0)
	s_barrier
	s_and_saveexec_b64 s[2:3], s[22:23]
	s_cbranch_execz .LBB13_36
; %bb.33:                               ;   in Loop: Header=BB13_6 Depth=1
	ds_read_b32 v1, v8
	ds_read_b32 v5, v18
	v_mov_b32_e32 v3, 0
	v_mov_b32_e32 v4, 0
	s_waitcnt lgkmcnt(0)
	v_cmp_eq_u32_e64 s[0:1], v1, v5
	s_and_saveexec_b64 s[26:27], s[0:1]
; %bb.34:                               ;   in Loop: Header=BB13_6 Depth=1
	ds_read_b64 v[3:4], v19
; %bb.35:                               ;   in Loop: Header=BB13_6 Depth=1
	s_or_b64 exec, exec, s[26:27]
.LBB13_36:                              ;   in Loop: Header=BB13_6 Depth=1
	s_or_b64 exec, exec, s[2:3]
	s_waitcnt lgkmcnt(0)
	s_barrier
	ds_read_b64 v[5:6], v9
	s_waitcnt lgkmcnt(0)
	v_add_f64 v[5:6], v[3:4], v[5:6]
	v_mov_b32_e32 v3, 0
	v_mov_b32_e32 v4, 0
	ds_write_b64 v9, v[5:6]
	s_waitcnt lgkmcnt(0)
	s_barrier
	s_and_saveexec_b64 s[2:3], s[24:25]
	s_cbranch_execz .LBB13_40
; %bb.37:                               ;   in Loop: Header=BB13_6 Depth=1
	ds_read_b32 v1, v8
	ds_read_b32 v5, v20
	v_mov_b32_e32 v3, 0
	v_mov_b32_e32 v4, 0
	s_waitcnt lgkmcnt(0)
	v_cmp_eq_u32_e64 s[0:1], v1, v5
	s_and_saveexec_b64 s[26:27], s[0:1]
; %bb.38:                               ;   in Loop: Header=BB13_6 Depth=1
	ds_read_b64 v[3:4], v21
; %bb.39:                               ;   in Loop: Header=BB13_6 Depth=1
	s_or_b64 exec, exec, s[26:27]
.LBB13_40:                              ;   in Loop: Header=BB13_6 Depth=1
	s_or_b64 exec, exec, s[2:3]
	s_waitcnt lgkmcnt(0)
	s_barrier
	ds_read_b64 v[5:6], v9
	s_waitcnt lgkmcnt(0)
	v_add_f64 v[3:4], v[3:4], v[5:6]
	ds_write_b64 v9, v[3:4]
	s_waitcnt lgkmcnt(0)
	s_barrier
	ds_read_b32 v1, v8
	v_mov_b32_e32 v3, -1
	s_and_saveexec_b64 s[0:1], vcc
; %bb.41:                               ;   in Loop: Header=BB13_6 Depth=1
	ds_read_b32 v3, v8 offset:4
; %bb.42:                               ;   in Loop: Header=BB13_6 Depth=1
	s_or_b64 exec, exec, s[0:1]
	s_waitcnt lgkmcnt(0)
	v_cmp_ne_u32_e64 s[0:1], v1, v3
	v_cmp_lt_i32_e64 s[2:3], -1, v1
	s_and_b64 s[0:1], s[2:3], s[0:1]
	s_and_saveexec_b64 s[2:3], s[0:1]
	s_cbranch_execz .LBB13_5
; %bb.43:                               ;   in Loop: Header=BB13_6 Depth=1
	v_lshlrev_b64 v[3:4], 3, v[1:2]
	v_mov_b32_e32 v1, s7
	v_add_co_u32_e64 v3, s[0:1], s6, v3
	v_addc_co_u32_e64 v4, s[0:1], v1, v4, s[0:1]
	global_load_dwordx2 v[5:6], v[3:4], off
	ds_read_b64 v[22:23], v9
	s_waitcnt vmcnt(0) lgkmcnt(0)
	v_add_f64 v[5:6], v[5:6], v[22:23]
	global_store_dwordx2 v[3:4], v[5:6], off
	s_branch .LBB13_5
.LBB13_44:
	s_endpgm
	.section	.rodata,"a",@progbits
	.p2align	6, 0x0
	.amdhsa_kernel _ZN9rocsparseL29coomvn_segmented_loops_reduceILj256EiddEEvT0_NS_24const_host_device_scalarIT2_EEPKS1_PKS3_PT1_b
		.amdhsa_group_segment_fixed_size 3072
		.amdhsa_private_segment_fixed_size 0
		.amdhsa_kernarg_size 44
		.amdhsa_user_sgpr_count 6
		.amdhsa_user_sgpr_private_segment_buffer 1
		.amdhsa_user_sgpr_dispatch_ptr 0
		.amdhsa_user_sgpr_queue_ptr 0
		.amdhsa_user_sgpr_kernarg_segment_ptr 1
		.amdhsa_user_sgpr_dispatch_id 0
		.amdhsa_user_sgpr_flat_scratch_init 0
		.amdhsa_user_sgpr_private_segment_size 0
		.amdhsa_uses_dynamic_stack 0
		.amdhsa_system_sgpr_private_segment_wavefront_offset 0
		.amdhsa_system_sgpr_workgroup_id_x 1
		.amdhsa_system_sgpr_workgroup_id_y 0
		.amdhsa_system_sgpr_workgroup_id_z 0
		.amdhsa_system_sgpr_workgroup_info 0
		.amdhsa_system_vgpr_workitem_id 0
		.amdhsa_next_free_vgpr 24
		.amdhsa_next_free_sgpr 30
		.amdhsa_reserve_vcc 1
		.amdhsa_reserve_flat_scratch 0
		.amdhsa_float_round_mode_32 0
		.amdhsa_float_round_mode_16_64 0
		.amdhsa_float_denorm_mode_32 3
		.amdhsa_float_denorm_mode_16_64 3
		.amdhsa_dx10_clamp 1
		.amdhsa_ieee_mode 1
		.amdhsa_fp16_overflow 0
		.amdhsa_exception_fp_ieee_invalid_op 0
		.amdhsa_exception_fp_denorm_src 0
		.amdhsa_exception_fp_ieee_div_zero 0
		.amdhsa_exception_fp_ieee_overflow 0
		.amdhsa_exception_fp_ieee_underflow 0
		.amdhsa_exception_fp_ieee_inexact 0
		.amdhsa_exception_int_div_zero 0
	.end_amdhsa_kernel
	.section	.text._ZN9rocsparseL29coomvn_segmented_loops_reduceILj256EiddEEvT0_NS_24const_host_device_scalarIT2_EEPKS1_PKS3_PT1_b,"axG",@progbits,_ZN9rocsparseL29coomvn_segmented_loops_reduceILj256EiddEEvT0_NS_24const_host_device_scalarIT2_EEPKS1_PKS3_PT1_b,comdat
.Lfunc_end13:
	.size	_ZN9rocsparseL29coomvn_segmented_loops_reduceILj256EiddEEvT0_NS_24const_host_device_scalarIT2_EEPKS1_PKS3_PT1_b, .Lfunc_end13-_ZN9rocsparseL29coomvn_segmented_loops_reduceILj256EiddEEvT0_NS_24const_host_device_scalarIT2_EEPKS1_PKS3_PT1_b
                                        ; -- End function
	.set _ZN9rocsparseL29coomvn_segmented_loops_reduceILj256EiddEEvT0_NS_24const_host_device_scalarIT2_EEPKS1_PKS3_PT1_b.num_vgpr, 24
	.set _ZN9rocsparseL29coomvn_segmented_loops_reduceILj256EiddEEvT0_NS_24const_host_device_scalarIT2_EEPKS1_PKS3_PT1_b.num_agpr, 0
	.set _ZN9rocsparseL29coomvn_segmented_loops_reduceILj256EiddEEvT0_NS_24const_host_device_scalarIT2_EEPKS1_PKS3_PT1_b.numbered_sgpr, 30
	.set _ZN9rocsparseL29coomvn_segmented_loops_reduceILj256EiddEEvT0_NS_24const_host_device_scalarIT2_EEPKS1_PKS3_PT1_b.num_named_barrier, 0
	.set _ZN9rocsparseL29coomvn_segmented_loops_reduceILj256EiddEEvT0_NS_24const_host_device_scalarIT2_EEPKS1_PKS3_PT1_b.private_seg_size, 0
	.set _ZN9rocsparseL29coomvn_segmented_loops_reduceILj256EiddEEvT0_NS_24const_host_device_scalarIT2_EEPKS1_PKS3_PT1_b.uses_vcc, 1
	.set _ZN9rocsparseL29coomvn_segmented_loops_reduceILj256EiddEEvT0_NS_24const_host_device_scalarIT2_EEPKS1_PKS3_PT1_b.uses_flat_scratch, 0
	.set _ZN9rocsparseL29coomvn_segmented_loops_reduceILj256EiddEEvT0_NS_24const_host_device_scalarIT2_EEPKS1_PKS3_PT1_b.has_dyn_sized_stack, 0
	.set _ZN9rocsparseL29coomvn_segmented_loops_reduceILj256EiddEEvT0_NS_24const_host_device_scalarIT2_EEPKS1_PKS3_PT1_b.has_recursion, 0
	.set _ZN9rocsparseL29coomvn_segmented_loops_reduceILj256EiddEEvT0_NS_24const_host_device_scalarIT2_EEPKS1_PKS3_PT1_b.has_indirect_call, 0
	.section	.AMDGPU.csdata,"",@progbits
; Kernel info:
; codeLenInByte = 1560
; TotalNumSgprs: 34
; NumVgprs: 24
; ScratchSize: 0
; MemoryBound: 0
; FloatMode: 240
; IeeeMode: 1
; LDSByteSize: 3072 bytes/workgroup (compile time only)
; SGPRBlocks: 4
; VGPRBlocks: 5
; NumSGPRsForWavesPerEU: 34
; NumVGPRsForWavesPerEU: 24
; Occupancy: 10
; WaveLimiterHint : 0
; COMPUTE_PGM_RSRC2:SCRATCH_EN: 0
; COMPUTE_PGM_RSRC2:USER_SGPR: 6
; COMPUTE_PGM_RSRC2:TRAP_HANDLER: 0
; COMPUTE_PGM_RSRC2:TGID_X_EN: 1
; COMPUTE_PGM_RSRC2:TGID_Y_EN: 0
; COMPUTE_PGM_RSRC2:TGID_Z_EN: 0
; COMPUTE_PGM_RSRC2:TIDIG_COMP_CNT: 0
	.section	.text._ZN9rocsparseL13coomvt_kernelILj1024EiddddEEv20rocsparse_operation_lNS_24const_host_device_scalarIT4_EEPKT0_S7_PKT1_PKT2_PT3_21rocsparse_index_base_b,"axG",@progbits,_ZN9rocsparseL13coomvt_kernelILj1024EiddddEEv20rocsparse_operation_lNS_24const_host_device_scalarIT4_EEPKT0_S7_PKT1_PKT2_PT3_21rocsparse_index_base_b,comdat
	.globl	_ZN9rocsparseL13coomvt_kernelILj1024EiddddEEv20rocsparse_operation_lNS_24const_host_device_scalarIT4_EEPKT0_S7_PKT1_PKT2_PT3_21rocsparse_index_base_b ; -- Begin function _ZN9rocsparseL13coomvt_kernelILj1024EiddddEEv20rocsparse_operation_lNS_24const_host_device_scalarIT4_EEPKT0_S7_PKT1_PKT2_PT3_21rocsparse_index_base_b
	.p2align	8
	.type	_ZN9rocsparseL13coomvt_kernelILj1024EiddddEEv20rocsparse_operation_lNS_24const_host_device_scalarIT4_EEPKT0_S7_PKT1_PKT2_PT3_21rocsparse_index_base_b,@function
_ZN9rocsparseL13coomvt_kernelILj1024EiddddEEv20rocsparse_operation_lNS_24const_host_device_scalarIT4_EEPKT0_S7_PKT1_PKT2_PT3_21rocsparse_index_base_b: ; @_ZN9rocsparseL13coomvt_kernelILj1024EiddddEEv20rocsparse_operation_lNS_24const_host_device_scalarIT4_EEPKT0_S7_PKT1_PKT2_PT3_21rocsparse_index_base_b
; %bb.0:
	s_load_dwordx2 s[16:17], s[4:5], 0x40
	s_load_dwordx4 s[0:3], s[4:5], 0x8
	s_waitcnt lgkmcnt(0)
	s_bitcmp1_b32 s17, 0
	s_cselect_b64 s[8:9], -1, 0
	v_mov_b32_e32 v5, s3
	s_and_b64 vcc, exec, s[8:9]
	v_mov_b32_e32 v4, s2
	s_cbranch_vccnz .LBB14_2
; %bb.1:
	v_mov_b32_e32 v1, s2
	v_mov_b32_e32 v2, s3
	flat_load_dwordx2 v[4:5], v[1:2]
.LBB14_2:
	s_waitcnt vmcnt(0) lgkmcnt(0)
	v_cmp_neq_f64_e32 vcc, 0, v[4:5]
	s_and_saveexec_b64 s[2:3], vcc
	s_cbranch_execz .LBB14_6
; %bb.3:
	s_load_dword s2, s[4:5], 0x54
	v_mov_b32_e32 v1, 0
	s_waitcnt lgkmcnt(0)
	s_and_b32 s2, s2, 0xffff
	s_mul_i32 s6, s6, s2
	v_add_u32_e32 v0, s6, v0
	v_cmp_gt_i64_e32 vcc, s[0:1], v[0:1]
	s_and_b64 exec, exec, vcc
	s_cbranch_execz .LBB14_6
; %bb.4:
	s_load_dwordx8 s[8:15], s[4:5], 0x18
	v_lshlrev_b64 v[2:3], 2, v[0:1]
	v_lshlrev_b64 v[0:1], 3, v[0:1]
	s_load_dwordx2 s[0:1], s[4:5], 0x38
	s_waitcnt lgkmcnt(0)
	v_mov_b32_e32 v7, s9
	v_add_co_u32_e32 v6, vcc, s8, v2
	v_addc_co_u32_e32 v7, vcc, v7, v3, vcc
	global_load_dword v6, v[6:7], off
	v_mov_b32_e32 v7, s11
	v_add_co_u32_e32 v2, vcc, s10, v2
	v_addc_co_u32_e32 v3, vcc, v7, v3, vcc
	global_load_dword v3, v[2:3], off
	v_mov_b32_e32 v2, s13
	v_add_co_u32_e32 v0, vcc, s12, v0
	v_addc_co_u32_e32 v1, vcc, v2, v1, vcc
	global_load_dwordx2 v[0:1], v[0:1], off
	v_mov_b32_e32 v7, s15
	s_waitcnt vmcnt(2)
	v_subrev_u32_e32 v2, s16, v6
	s_waitcnt vmcnt(1)
	v_subrev_u32_e32 v6, s16, v3
	v_ashrrev_i32_e32 v3, 31, v2
	v_lshlrev_b64 v[2:3], 3, v[2:3]
	v_add_co_u32_e32 v2, vcc, s14, v2
	v_addc_co_u32_e32 v3, vcc, v7, v3, vcc
	global_load_dwordx2 v[8:9], v[2:3], off
	v_ashrrev_i32_e32 v7, 31, v6
	v_lshlrev_b64 v[2:3], 3, v[6:7]
	v_mov_b32_e32 v7, s1
	v_add_co_u32_e32 v6, vcc, s0, v2
	v_addc_co_u32_e32 v7, vcc, v7, v3, vcc
	global_load_dwordx2 v[2:3], v[6:7], off
	s_waitcnt vmcnt(2)
	v_mul_f64 v[0:1], v[4:5], v[0:1]
	s_mov_b64 s[0:1], 0
	s_waitcnt vmcnt(1)
	v_mul_f64 v[4:5], v[0:1], v[8:9]
.LBB14_5:                               ; =>This Inner Loop Header: Depth=1
	s_waitcnt vmcnt(0)
	v_add_f64 v[0:1], v[2:3], v[4:5]
	global_atomic_cmpswap_x2 v[0:1], v[6:7], v[0:3], off glc
	s_waitcnt vmcnt(0)
	v_cmp_eq_u64_e32 vcc, v[0:1], v[2:3]
	v_mov_b32_e32 v3, v1
	s_or_b64 s[0:1], vcc, s[0:1]
	v_mov_b32_e32 v2, v0
	s_andn2_b64 exec, exec, s[0:1]
	s_cbranch_execnz .LBB14_5
.LBB14_6:
	s_endpgm
	.section	.rodata,"a",@progbits
	.p2align	6, 0x0
	.amdhsa_kernel _ZN9rocsparseL13coomvt_kernelILj1024EiddddEEv20rocsparse_operation_lNS_24const_host_device_scalarIT4_EEPKT0_S7_PKT1_PKT2_PT3_21rocsparse_index_base_b
		.amdhsa_group_segment_fixed_size 0
		.amdhsa_private_segment_fixed_size 0
		.amdhsa_kernarg_size 328
		.amdhsa_user_sgpr_count 6
		.amdhsa_user_sgpr_private_segment_buffer 1
		.amdhsa_user_sgpr_dispatch_ptr 0
		.amdhsa_user_sgpr_queue_ptr 0
		.amdhsa_user_sgpr_kernarg_segment_ptr 1
		.amdhsa_user_sgpr_dispatch_id 0
		.amdhsa_user_sgpr_flat_scratch_init 0
		.amdhsa_user_sgpr_private_segment_size 0
		.amdhsa_uses_dynamic_stack 0
		.amdhsa_system_sgpr_private_segment_wavefront_offset 0
		.amdhsa_system_sgpr_workgroup_id_x 1
		.amdhsa_system_sgpr_workgroup_id_y 0
		.amdhsa_system_sgpr_workgroup_id_z 0
		.amdhsa_system_sgpr_workgroup_info 0
		.amdhsa_system_vgpr_workitem_id 0
		.amdhsa_next_free_vgpr 10
		.amdhsa_next_free_sgpr 18
		.amdhsa_reserve_vcc 1
		.amdhsa_reserve_flat_scratch 0
		.amdhsa_float_round_mode_32 0
		.amdhsa_float_round_mode_16_64 0
		.amdhsa_float_denorm_mode_32 3
		.amdhsa_float_denorm_mode_16_64 3
		.amdhsa_dx10_clamp 1
		.amdhsa_ieee_mode 1
		.amdhsa_fp16_overflow 0
		.amdhsa_exception_fp_ieee_invalid_op 0
		.amdhsa_exception_fp_denorm_src 0
		.amdhsa_exception_fp_ieee_div_zero 0
		.amdhsa_exception_fp_ieee_overflow 0
		.amdhsa_exception_fp_ieee_underflow 0
		.amdhsa_exception_fp_ieee_inexact 0
		.amdhsa_exception_int_div_zero 0
	.end_amdhsa_kernel
	.section	.text._ZN9rocsparseL13coomvt_kernelILj1024EiddddEEv20rocsparse_operation_lNS_24const_host_device_scalarIT4_EEPKT0_S7_PKT1_PKT2_PT3_21rocsparse_index_base_b,"axG",@progbits,_ZN9rocsparseL13coomvt_kernelILj1024EiddddEEv20rocsparse_operation_lNS_24const_host_device_scalarIT4_EEPKT0_S7_PKT1_PKT2_PT3_21rocsparse_index_base_b,comdat
.Lfunc_end14:
	.size	_ZN9rocsparseL13coomvt_kernelILj1024EiddddEEv20rocsparse_operation_lNS_24const_host_device_scalarIT4_EEPKT0_S7_PKT1_PKT2_PT3_21rocsparse_index_base_b, .Lfunc_end14-_ZN9rocsparseL13coomvt_kernelILj1024EiddddEEv20rocsparse_operation_lNS_24const_host_device_scalarIT4_EEPKT0_S7_PKT1_PKT2_PT3_21rocsparse_index_base_b
                                        ; -- End function
	.set _ZN9rocsparseL13coomvt_kernelILj1024EiddddEEv20rocsparse_operation_lNS_24const_host_device_scalarIT4_EEPKT0_S7_PKT1_PKT2_PT3_21rocsparse_index_base_b.num_vgpr, 10
	.set _ZN9rocsparseL13coomvt_kernelILj1024EiddddEEv20rocsparse_operation_lNS_24const_host_device_scalarIT4_EEPKT0_S7_PKT1_PKT2_PT3_21rocsparse_index_base_b.num_agpr, 0
	.set _ZN9rocsparseL13coomvt_kernelILj1024EiddddEEv20rocsparse_operation_lNS_24const_host_device_scalarIT4_EEPKT0_S7_PKT1_PKT2_PT3_21rocsparse_index_base_b.numbered_sgpr, 18
	.set _ZN9rocsparseL13coomvt_kernelILj1024EiddddEEv20rocsparse_operation_lNS_24const_host_device_scalarIT4_EEPKT0_S7_PKT1_PKT2_PT3_21rocsparse_index_base_b.num_named_barrier, 0
	.set _ZN9rocsparseL13coomvt_kernelILj1024EiddddEEv20rocsparse_operation_lNS_24const_host_device_scalarIT4_EEPKT0_S7_PKT1_PKT2_PT3_21rocsparse_index_base_b.private_seg_size, 0
	.set _ZN9rocsparseL13coomvt_kernelILj1024EiddddEEv20rocsparse_operation_lNS_24const_host_device_scalarIT4_EEPKT0_S7_PKT1_PKT2_PT3_21rocsparse_index_base_b.uses_vcc, 1
	.set _ZN9rocsparseL13coomvt_kernelILj1024EiddddEEv20rocsparse_operation_lNS_24const_host_device_scalarIT4_EEPKT0_S7_PKT1_PKT2_PT3_21rocsparse_index_base_b.uses_flat_scratch, 0
	.set _ZN9rocsparseL13coomvt_kernelILj1024EiddddEEv20rocsparse_operation_lNS_24const_host_device_scalarIT4_EEPKT0_S7_PKT1_PKT2_PT3_21rocsparse_index_base_b.has_dyn_sized_stack, 0
	.set _ZN9rocsparseL13coomvt_kernelILj1024EiddddEEv20rocsparse_operation_lNS_24const_host_device_scalarIT4_EEPKT0_S7_PKT1_PKT2_PT3_21rocsparse_index_base_b.has_recursion, 0
	.set _ZN9rocsparseL13coomvt_kernelILj1024EiddddEEv20rocsparse_operation_lNS_24const_host_device_scalarIT4_EEPKT0_S7_PKT1_PKT2_PT3_21rocsparse_index_base_b.has_indirect_call, 0
	.section	.AMDGPU.csdata,"",@progbits
; Kernel info:
; codeLenInByte = 376
; TotalNumSgprs: 22
; NumVgprs: 10
; ScratchSize: 0
; MemoryBound: 0
; FloatMode: 240
; IeeeMode: 1
; LDSByteSize: 0 bytes/workgroup (compile time only)
; SGPRBlocks: 2
; VGPRBlocks: 2
; NumSGPRsForWavesPerEU: 22
; NumVGPRsForWavesPerEU: 10
; Occupancy: 10
; WaveLimiterHint : 1
; COMPUTE_PGM_RSRC2:SCRATCH_EN: 0
; COMPUTE_PGM_RSRC2:USER_SGPR: 6
; COMPUTE_PGM_RSRC2:TRAP_HANDLER: 0
; COMPUTE_PGM_RSRC2:TGID_X_EN: 1
; COMPUTE_PGM_RSRC2:TGID_Y_EN: 0
; COMPUTE_PGM_RSRC2:TGID_Z_EN: 0
; COMPUTE_PGM_RSRC2:TIDIG_COMP_CNT: 0
	.section	.text._ZN9rocsparseL19coomvn_atomic_loopsILj256ELj1EiddddEEvlNS_24const_host_device_scalarIT5_EEPKT1_S6_PKT2_PKT3_PT4_21rocsparse_index_base_b,"axG",@progbits,_ZN9rocsparseL19coomvn_atomic_loopsILj256ELj1EiddddEEvlNS_24const_host_device_scalarIT5_EEPKT1_S6_PKT2_PKT3_PT4_21rocsparse_index_base_b,comdat
	.globl	_ZN9rocsparseL19coomvn_atomic_loopsILj256ELj1EiddddEEvlNS_24const_host_device_scalarIT5_EEPKT1_S6_PKT2_PKT3_PT4_21rocsparse_index_base_b ; -- Begin function _ZN9rocsparseL19coomvn_atomic_loopsILj256ELj1EiddddEEvlNS_24const_host_device_scalarIT5_EEPKT1_S6_PKT2_PKT3_PT4_21rocsparse_index_base_b
	.p2align	8
	.type	_ZN9rocsparseL19coomvn_atomic_loopsILj256ELj1EiddddEEvlNS_24const_host_device_scalarIT5_EEPKT1_S6_PKT2_PKT3_PT4_21rocsparse_index_base_b,@function
_ZN9rocsparseL19coomvn_atomic_loopsILj256ELj1EiddddEEvlNS_24const_host_device_scalarIT5_EEPKT1_S6_PKT2_PKT3_PT4_21rocsparse_index_base_b: ; @_ZN9rocsparseL19coomvn_atomic_loopsILj256ELj1EiddddEEvlNS_24const_host_device_scalarIT5_EEPKT1_S6_PKT2_PKT3_PT4_21rocsparse_index_base_b
; %bb.0:
	s_load_dwordx2 s[16:17], s[4:5], 0x38
	s_load_dwordx4 s[0:3], s[4:5], 0x0
	s_waitcnt lgkmcnt(0)
	s_bitcmp1_b32 s17, 0
	s_cselect_b64 s[8:9], -1, 0
	v_mov_b32_e32 v6, s3
	s_and_b64 vcc, exec, s[8:9]
	v_mov_b32_e32 v5, s2
	s_cbranch_vccnz .LBB15_2
; %bb.1:
	v_mov_b32_e32 v1, s2
	v_mov_b32_e32 v2, s3
	flat_load_dwordx2 v[5:6], v[1:2]
.LBB15_2:
	s_waitcnt vmcnt(0) lgkmcnt(0)
	v_cmp_neq_f64_e32 vcc, 0, v[5:6]
	s_and_saveexec_b64 s[2:3], vcc
	s_cbranch_execz .LBB15_44
; %bb.3:
	v_lshl_or_b32 v1, s6, 8, v0
	v_mov_b32_e32 v2, 0
	v_cmp_gt_i64_e32 vcc, s[0:1], v[1:2]
	v_mov_b32_e32 v7, 0
	v_mov_b32_e32 v8, 0
	v_mov_b32_e32 v9, -1
	s_and_saveexec_b64 s[0:1], vcc
	s_cbranch_execz .LBB15_5
; %bb.4:
	s_load_dwordx8 s[8:15], s[4:5], 0x10
	v_lshlrev_b64 v[3:4], 2, v[1:2]
	v_lshlrev_b64 v[1:2], 3, v[1:2]
	s_waitcnt lgkmcnt(0)
	v_mov_b32_e32 v8, s11
	v_add_co_u32_e32 v7, vcc, s10, v3
	v_addc_co_u32_e32 v8, vcc, v8, v4, vcc
	global_load_dword v7, v[7:8], off glc slc
	v_mov_b32_e32 v8, s13
	v_add_co_u32_e32 v1, vcc, s12, v1
	v_addc_co_u32_e32 v2, vcc, v8, v2, vcc
	v_mov_b32_e32 v9, s15
	global_load_dwordx2 v[1:2], v[1:2], off glc slc
	s_waitcnt vmcnt(1)
	v_subrev_u32_e32 v7, s16, v7
	v_ashrrev_i32_e32 v8, 31, v7
	v_lshlrev_b64 v[7:8], 3, v[7:8]
	v_add_co_u32_e32 v7, vcc, s14, v7
	v_addc_co_u32_e32 v8, vcc, v9, v8, vcc
	global_load_dwordx2 v[7:8], v[7:8], off
	v_mov_b32_e32 v9, s9
	v_add_co_u32_e32 v3, vcc, s8, v3
	v_addc_co_u32_e32 v4, vcc, v9, v4, vcc
	global_load_dword v3, v[3:4], off glc slc
	s_waitcnt vmcnt(1)
	v_mul_f64 v[7:8], v[1:2], v[7:8]
	s_waitcnt vmcnt(0)
	v_subrev_u32_e32 v9, s16, v3
.LBB15_5:
	s_or_b64 exec, exec, s[0:1]
	v_lshlrev_b32_e32 v2, 2, v0
	v_or_b32_e32 v1, 0x800, v2
	ds_write_b32 v2, v9 offset:2048
	v_lshlrev_b32_e32 v2, 3, v0
	v_cmp_ne_u32_e32 vcc, 0, v0
	ds_write_b64 v2, v[7:8]
	s_waitcnt lgkmcnt(0)
	s_barrier
	s_and_saveexec_b64 s[0:1], vcc
	s_cbranch_execz .LBB15_9
; %bb.6:
	v_add_u32_e32 v3, -4, v1
	ds_read_b32 v3, v3
	s_waitcnt lgkmcnt(0)
	v_cmp_eq_u32_e32 vcc, v9, v3
	s_and_saveexec_b64 s[2:3], vcc
	s_cbranch_execz .LBB15_8
; %bb.7:
	v_add_u32_e32 v3, -8, v2
	ds_read_b64 v[3:4], v3
	s_waitcnt lgkmcnt(0)
	v_add_f64 v[7:8], v[7:8], v[3:4]
.LBB15_8:
	s_or_b64 exec, exec, s[2:3]
.LBB15_9:
	s_or_b64 exec, exec, s[0:1]
	v_cmp_lt_u32_e32 vcc, 1, v0
	s_barrier
	ds_write_b64 v2, v[7:8]
	s_waitcnt lgkmcnt(0)
	s_barrier
	s_and_saveexec_b64 s[0:1], vcc
	s_cbranch_execz .LBB15_13
; %bb.10:
	v_add_u32_e32 v3, -8, v1
	ds_read_b32 v3, v3
	s_waitcnt lgkmcnt(0)
	v_cmp_eq_u32_e32 vcc, v9, v3
	s_and_saveexec_b64 s[2:3], vcc
	s_cbranch_execz .LBB15_12
; %bb.11:
	v_add_u32_e32 v3, -16, v2
	ds_read_b64 v[3:4], v3
	s_waitcnt lgkmcnt(0)
	v_add_f64 v[7:8], v[7:8], v[3:4]
.LBB15_12:
	s_or_b64 exec, exec, s[2:3]
.LBB15_13:
	s_or_b64 exec, exec, s[0:1]
	v_cmp_lt_u32_e32 vcc, 3, v0
	s_barrier
	ds_write_b64 v2, v[7:8]
	s_waitcnt lgkmcnt(0)
	s_barrier
	s_and_saveexec_b64 s[0:1], vcc
	s_cbranch_execz .LBB15_17
; %bb.14:
	v_add_u32_e32 v3, -16, v1
	ds_read_b32 v3, v3
	s_waitcnt lgkmcnt(0)
	v_cmp_eq_u32_e32 vcc, v9, v3
	s_and_saveexec_b64 s[2:3], vcc
	s_cbranch_execz .LBB15_16
; %bb.15:
	v_subrev_u32_e32 v3, 32, v2
	ds_read_b64 v[3:4], v3
	s_waitcnt lgkmcnt(0)
	v_add_f64 v[7:8], v[7:8], v[3:4]
.LBB15_16:
	s_or_b64 exec, exec, s[2:3]
.LBB15_17:
	s_or_b64 exec, exec, s[0:1]
	v_cmp_lt_u32_e32 vcc, 7, v0
	s_barrier
	ds_write_b64 v2, v[7:8]
	s_waitcnt lgkmcnt(0)
	s_barrier
	s_and_saveexec_b64 s[0:1], vcc
	s_cbranch_execz .LBB15_21
; %bb.18:
	v_subrev_u32_e32 v3, 32, v1
	ds_read_b32 v3, v3
	s_waitcnt lgkmcnt(0)
	v_cmp_eq_u32_e32 vcc, v9, v3
	s_and_saveexec_b64 s[2:3], vcc
	s_cbranch_execz .LBB15_20
; %bb.19:
	v_subrev_u32_e32 v3, 64, v2
	ds_read_b64 v[3:4], v3
	s_waitcnt lgkmcnt(0)
	v_add_f64 v[7:8], v[7:8], v[3:4]
.LBB15_20:
	s_or_b64 exec, exec, s[2:3]
.LBB15_21:
	s_or_b64 exec, exec, s[0:1]
	v_cmp_lt_u32_e32 vcc, 15, v0
	s_barrier
	ds_write_b64 v2, v[7:8]
	s_waitcnt lgkmcnt(0)
	s_barrier
	s_and_saveexec_b64 s[0:1], vcc
	s_cbranch_execz .LBB15_25
; %bb.22:
	v_subrev_u32_e32 v3, 64, v1
	ds_read_b32 v3, v3
	s_waitcnt lgkmcnt(0)
	v_cmp_eq_u32_e32 vcc, v9, v3
	s_and_saveexec_b64 s[2:3], vcc
	s_cbranch_execz .LBB15_24
; %bb.23:
	v_add_u32_e32 v3, 0xffffff80, v2
	ds_read_b64 v[3:4], v3
	s_waitcnt lgkmcnt(0)
	v_add_f64 v[7:8], v[7:8], v[3:4]
.LBB15_24:
	s_or_b64 exec, exec, s[2:3]
.LBB15_25:
	s_or_b64 exec, exec, s[0:1]
	v_cmp_lt_u32_e32 vcc, 31, v0
	s_barrier
	ds_write_b64 v2, v[7:8]
	s_waitcnt lgkmcnt(0)
	s_barrier
	s_and_saveexec_b64 s[0:1], vcc
	s_cbranch_execz .LBB15_29
; %bb.26:
	v_add_u32_e32 v3, 0xffffff80, v1
	ds_read_b32 v3, v3
	s_waitcnt lgkmcnt(0)
	v_cmp_eq_u32_e32 vcc, v9, v3
	s_and_saveexec_b64 s[2:3], vcc
	s_cbranch_execz .LBB15_28
; %bb.27:
	v_add_u32_e32 v3, 0xffffff00, v2
	ds_read_b64 v[3:4], v3
	s_waitcnt lgkmcnt(0)
	v_add_f64 v[7:8], v[7:8], v[3:4]
.LBB15_28:
	s_or_b64 exec, exec, s[2:3]
.LBB15_29:
	s_or_b64 exec, exec, s[0:1]
	v_cmp_lt_u32_e32 vcc, 63, v0
	s_barrier
	ds_write_b64 v2, v[7:8]
	s_waitcnt lgkmcnt(0)
	s_barrier
	s_and_saveexec_b64 s[0:1], vcc
	s_cbranch_execz .LBB15_33
; %bb.30:
	v_add_u32_e32 v3, 0xffffff00, v1
	ds_read_b32 v3, v3
	s_waitcnt lgkmcnt(0)
	v_cmp_eq_u32_e32 vcc, v9, v3
	s_and_saveexec_b64 s[2:3], vcc
	s_cbranch_execz .LBB15_32
; %bb.31:
	v_add_u32_e32 v3, 0xfffffe00, v2
	ds_read_b64 v[3:4], v3
	s_waitcnt lgkmcnt(0)
	v_add_f64 v[7:8], v[7:8], v[3:4]
.LBB15_32:
	s_or_b64 exec, exec, s[2:3]
.LBB15_33:
	s_or_b64 exec, exec, s[0:1]
	s_load_dwordx2 s[2:3], s[4:5], 0x30
	s_movk_i32 s0, 0x7f
	v_cmp_lt_u32_e32 vcc, s0, v0
	s_waitcnt lgkmcnt(0)
	s_barrier
	ds_write_b64 v2, v[7:8]
	s_waitcnt lgkmcnt(0)
	s_barrier
	s_and_saveexec_b64 s[0:1], vcc
	s_cbranch_execz .LBB15_37
; %bb.34:
	v_add_u32_e32 v3, 0xfffffe00, v1
	ds_read_b32 v3, v3
	s_waitcnt lgkmcnt(0)
	v_cmp_eq_u32_e32 vcc, v9, v3
	s_and_saveexec_b64 s[4:5], vcc
	s_cbranch_execz .LBB15_36
; %bb.35:
	v_add_u32_e32 v3, 0xfffffc00, v2
	ds_read_b64 v[3:4], v3
	s_waitcnt lgkmcnt(0)
	v_add_f64 v[7:8], v[7:8], v[3:4]
.LBB15_36:
	s_or_b64 exec, exec, s[4:5]
.LBB15_37:
	s_or_b64 exec, exec, s[0:1]
	s_movk_i32 s6, 0xff
	v_cmp_gt_u32_e32 vcc, s6, v0
	s_barrier
	ds_write_b64 v2, v[7:8]
	s_waitcnt lgkmcnt(0)
	s_barrier
	s_and_saveexec_b64 s[4:5], vcc
	s_cbranch_execz .LBB15_41
; %bb.38:
	ds_read_b32 v1, v1 offset:4
	v_cmp_lt_i32_e64 s[0:1], -1, v9
	s_waitcnt lgkmcnt(0)
	v_cmp_ne_u32_e32 vcc, v9, v1
	s_and_b64 s[0:1], s[0:1], vcc
	s_and_b64 exec, exec, s[0:1]
	s_cbranch_execz .LBB15_41
; %bb.39:
	v_mov_b32_e32 v10, 0
	v_lshlrev_b64 v[1:2], 3, v[9:10]
	v_mov_b32_e32 v3, s3
	v_add_co_u32_e32 v10, vcc, s2, v1
	v_addc_co_u32_e32 v11, vcc, v3, v2, vcc
	global_load_dwordx2 v[3:4], v[10:11], off
	v_mul_f64 v[12:13], v[5:6], v[7:8]
	s_mov_b64 s[0:1], 0
.LBB15_40:                              ; =>This Inner Loop Header: Depth=1
	s_waitcnt vmcnt(0)
	v_add_f64 v[1:2], v[3:4], v[12:13]
	global_atomic_cmpswap_x2 v[1:2], v[10:11], v[1:4], off glc
	s_waitcnt vmcnt(0)
	v_cmp_eq_u64_e32 vcc, v[1:2], v[3:4]
	v_mov_b32_e32 v4, v2
	s_or_b64 s[0:1], vcc, s[0:1]
	v_mov_b32_e32 v3, v1
	s_andn2_b64 exec, exec, s[0:1]
	s_cbranch_execnz .LBB15_40
.LBB15_41:
	s_or_b64 exec, exec, s[4:5]
	v_cmp_eq_u32_e32 vcc, s6, v0
	v_cmp_lt_i32_e64 s[0:1], -1, v9
	s_and_b64 s[0:1], vcc, s[0:1]
	s_and_b64 exec, exec, s[0:1]
	s_cbranch_execz .LBB15_44
; %bb.42:
	v_mov_b32_e32 v10, 0
	v_lshlrev_b64 v[0:1], 3, v[9:10]
	v_mov_b32_e32 v2, s3
	v_add_co_u32_e32 v9, vcc, s2, v0
	v_addc_co_u32_e32 v10, vcc, v2, v1, vcc
	global_load_dwordx2 v[2:3], v[9:10], off
	v_mul_f64 v[4:5], v[5:6], v[7:8]
	s_mov_b64 s[0:1], 0
.LBB15_43:                              ; =>This Inner Loop Header: Depth=1
	s_waitcnt vmcnt(0)
	v_add_f64 v[0:1], v[2:3], v[4:5]
	global_atomic_cmpswap_x2 v[0:1], v[9:10], v[0:3], off glc
	s_waitcnt vmcnt(0)
	v_cmp_eq_u64_e32 vcc, v[0:1], v[2:3]
	v_mov_b32_e32 v3, v1
	s_or_b64 s[0:1], vcc, s[0:1]
	v_mov_b32_e32 v2, v0
	s_andn2_b64 exec, exec, s[0:1]
	s_cbranch_execnz .LBB15_43
.LBB15_44:
	s_endpgm
	.section	.rodata,"a",@progbits
	.p2align	6, 0x0
	.amdhsa_kernel _ZN9rocsparseL19coomvn_atomic_loopsILj256ELj1EiddddEEvlNS_24const_host_device_scalarIT5_EEPKT1_S6_PKT2_PKT3_PT4_21rocsparse_index_base_b
		.amdhsa_group_segment_fixed_size 3072
		.amdhsa_private_segment_fixed_size 0
		.amdhsa_kernarg_size 64
		.amdhsa_user_sgpr_count 6
		.amdhsa_user_sgpr_private_segment_buffer 1
		.amdhsa_user_sgpr_dispatch_ptr 0
		.amdhsa_user_sgpr_queue_ptr 0
		.amdhsa_user_sgpr_kernarg_segment_ptr 1
		.amdhsa_user_sgpr_dispatch_id 0
		.amdhsa_user_sgpr_flat_scratch_init 0
		.amdhsa_user_sgpr_private_segment_size 0
		.amdhsa_uses_dynamic_stack 0
		.amdhsa_system_sgpr_private_segment_wavefront_offset 0
		.amdhsa_system_sgpr_workgroup_id_x 1
		.amdhsa_system_sgpr_workgroup_id_y 0
		.amdhsa_system_sgpr_workgroup_id_z 0
		.amdhsa_system_sgpr_workgroup_info 0
		.amdhsa_system_vgpr_workitem_id 0
		.amdhsa_next_free_vgpr 14
		.amdhsa_next_free_sgpr 18
		.amdhsa_reserve_vcc 1
		.amdhsa_reserve_flat_scratch 0
		.amdhsa_float_round_mode_32 0
		.amdhsa_float_round_mode_16_64 0
		.amdhsa_float_denorm_mode_32 3
		.amdhsa_float_denorm_mode_16_64 3
		.amdhsa_dx10_clamp 1
		.amdhsa_ieee_mode 1
		.amdhsa_fp16_overflow 0
		.amdhsa_exception_fp_ieee_invalid_op 0
		.amdhsa_exception_fp_denorm_src 0
		.amdhsa_exception_fp_ieee_div_zero 0
		.amdhsa_exception_fp_ieee_overflow 0
		.amdhsa_exception_fp_ieee_underflow 0
		.amdhsa_exception_fp_ieee_inexact 0
		.amdhsa_exception_int_div_zero 0
	.end_amdhsa_kernel
	.section	.text._ZN9rocsparseL19coomvn_atomic_loopsILj256ELj1EiddddEEvlNS_24const_host_device_scalarIT5_EEPKT1_S6_PKT2_PKT3_PT4_21rocsparse_index_base_b,"axG",@progbits,_ZN9rocsparseL19coomvn_atomic_loopsILj256ELj1EiddddEEvlNS_24const_host_device_scalarIT5_EEPKT1_S6_PKT2_PKT3_PT4_21rocsparse_index_base_b,comdat
.Lfunc_end15:
	.size	_ZN9rocsparseL19coomvn_atomic_loopsILj256ELj1EiddddEEvlNS_24const_host_device_scalarIT5_EEPKT1_S6_PKT2_PKT3_PT4_21rocsparse_index_base_b, .Lfunc_end15-_ZN9rocsparseL19coomvn_atomic_loopsILj256ELj1EiddddEEvlNS_24const_host_device_scalarIT5_EEPKT1_S6_PKT2_PKT3_PT4_21rocsparse_index_base_b
                                        ; -- End function
	.set _ZN9rocsparseL19coomvn_atomic_loopsILj256ELj1EiddddEEvlNS_24const_host_device_scalarIT5_EEPKT1_S6_PKT2_PKT3_PT4_21rocsparse_index_base_b.num_vgpr, 14
	.set _ZN9rocsparseL19coomvn_atomic_loopsILj256ELj1EiddddEEvlNS_24const_host_device_scalarIT5_EEPKT1_S6_PKT2_PKT3_PT4_21rocsparse_index_base_b.num_agpr, 0
	.set _ZN9rocsparseL19coomvn_atomic_loopsILj256ELj1EiddddEEvlNS_24const_host_device_scalarIT5_EEPKT1_S6_PKT2_PKT3_PT4_21rocsparse_index_base_b.numbered_sgpr, 18
	.set _ZN9rocsparseL19coomvn_atomic_loopsILj256ELj1EiddddEEvlNS_24const_host_device_scalarIT5_EEPKT1_S6_PKT2_PKT3_PT4_21rocsparse_index_base_b.num_named_barrier, 0
	.set _ZN9rocsparseL19coomvn_atomic_loopsILj256ELj1EiddddEEvlNS_24const_host_device_scalarIT5_EEPKT1_S6_PKT2_PKT3_PT4_21rocsparse_index_base_b.private_seg_size, 0
	.set _ZN9rocsparseL19coomvn_atomic_loopsILj256ELj1EiddddEEvlNS_24const_host_device_scalarIT5_EEPKT1_S6_PKT2_PKT3_PT4_21rocsparse_index_base_b.uses_vcc, 1
	.set _ZN9rocsparseL19coomvn_atomic_loopsILj256ELj1EiddddEEvlNS_24const_host_device_scalarIT5_EEPKT1_S6_PKT2_PKT3_PT4_21rocsparse_index_base_b.uses_flat_scratch, 0
	.set _ZN9rocsparseL19coomvn_atomic_loopsILj256ELj1EiddddEEvlNS_24const_host_device_scalarIT5_EEPKT1_S6_PKT2_PKT3_PT4_21rocsparse_index_base_b.has_dyn_sized_stack, 0
	.set _ZN9rocsparseL19coomvn_atomic_loopsILj256ELj1EiddddEEvlNS_24const_host_device_scalarIT5_EEPKT1_S6_PKT2_PKT3_PT4_21rocsparse_index_base_b.has_recursion, 0
	.set _ZN9rocsparseL19coomvn_atomic_loopsILj256ELj1EiddddEEvlNS_24const_host_device_scalarIT5_EEPKT1_S6_PKT2_PKT3_PT4_21rocsparse_index_base_b.has_indirect_call, 0
	.section	.AMDGPU.csdata,"",@progbits
; Kernel info:
; codeLenInByte = 1352
; TotalNumSgprs: 22
; NumVgprs: 14
; ScratchSize: 0
; MemoryBound: 0
; FloatMode: 240
; IeeeMode: 1
; LDSByteSize: 3072 bytes/workgroup (compile time only)
; SGPRBlocks: 2
; VGPRBlocks: 3
; NumSGPRsForWavesPerEU: 22
; NumVGPRsForWavesPerEU: 14
; Occupancy: 10
; WaveLimiterHint : 1
; COMPUTE_PGM_RSRC2:SCRATCH_EN: 0
; COMPUTE_PGM_RSRC2:USER_SGPR: 6
; COMPUTE_PGM_RSRC2:TRAP_HANDLER: 0
; COMPUTE_PGM_RSRC2:TGID_X_EN: 1
; COMPUTE_PGM_RSRC2:TGID_Y_EN: 0
; COMPUTE_PGM_RSRC2:TGID_Z_EN: 0
; COMPUTE_PGM_RSRC2:TIDIG_COMP_CNT: 0
	.section	.text._ZN9rocsparseL19coomvn_atomic_loopsILj256ELj2EiddddEEvlNS_24const_host_device_scalarIT5_EEPKT1_S6_PKT2_PKT3_PT4_21rocsparse_index_base_b,"axG",@progbits,_ZN9rocsparseL19coomvn_atomic_loopsILj256ELj2EiddddEEvlNS_24const_host_device_scalarIT5_EEPKT1_S6_PKT2_PKT3_PT4_21rocsparse_index_base_b,comdat
	.globl	_ZN9rocsparseL19coomvn_atomic_loopsILj256ELj2EiddddEEvlNS_24const_host_device_scalarIT5_EEPKT1_S6_PKT2_PKT3_PT4_21rocsparse_index_base_b ; -- Begin function _ZN9rocsparseL19coomvn_atomic_loopsILj256ELj2EiddddEEvlNS_24const_host_device_scalarIT5_EEPKT1_S6_PKT2_PKT3_PT4_21rocsparse_index_base_b
	.p2align	8
	.type	_ZN9rocsparseL19coomvn_atomic_loopsILj256ELj2EiddddEEvlNS_24const_host_device_scalarIT5_EEPKT1_S6_PKT2_PKT3_PT4_21rocsparse_index_base_b,@function
_ZN9rocsparseL19coomvn_atomic_loopsILj256ELj2EiddddEEvlNS_24const_host_device_scalarIT5_EEPKT1_S6_PKT2_PKT3_PT4_21rocsparse_index_base_b: ; @_ZN9rocsparseL19coomvn_atomic_loopsILj256ELj2EiddddEEvlNS_24const_host_device_scalarIT5_EEPKT1_S6_PKT2_PKT3_PT4_21rocsparse_index_base_b
; %bb.0:
	s_load_dwordx2 s[34:35], s[4:5], 0x38
	s_load_dwordx4 s[36:39], s[4:5], 0x0
	s_waitcnt lgkmcnt(0)
	s_bitcmp1_b32 s35, 0
	s_cselect_b64 s[0:1], -1, 0
	v_mov_b32_e32 v5, s38
	s_and_b64 vcc, exec, s[0:1]
	v_mov_b32_e32 v6, s39
	s_cbranch_vccnz .LBB16_2
; %bb.1:
	v_mov_b32_e32 v1, s38
	v_mov_b32_e32 v2, s39
	flat_load_dwordx2 v[5:6], v[1:2]
.LBB16_2:
	s_waitcnt vmcnt(0) lgkmcnt(0)
	v_cmp_neq_f64_e32 vcc, 0, v[5:6]
	s_and_saveexec_b64 s[0:1], vcc
	s_cbranch_execz .LBB16_95
; %bb.3:
	s_load_dwordx8 s[24:31], s[4:5], 0x10
	v_lshl_or_b32 v7, s6, 9, v0
	v_mov_b32_e32 v8, 0
	v_cmp_gt_i64_e32 vcc, s[36:37], v[7:8]
	v_mov_b32_e32 v1, 0
	v_lshlrev_b64 v[10:11], 2, v[7:8]
	v_lshlrev_b64 v[12:13], 3, v[7:8]
	v_mov_b32_e32 v2, 0
	v_mov_b32_e32 v3, -1
	s_and_saveexec_b64 s[0:1], vcc
	s_cbranch_execz .LBB16_5
; %bb.4:
	s_waitcnt lgkmcnt(0)
	v_mov_b32_e32 v2, s27
	v_add_co_u32_e32 v1, vcc, s26, v10
	v_addc_co_u32_e32 v2, vcc, v2, v11, vcc
	global_load_dword v3, v[1:2], off glc slc
	v_mov_b32_e32 v2, s29
	v_add_co_u32_e32 v1, vcc, s28, v12
	v_addc_co_u32_e32 v2, vcc, v2, v13, vcc
	v_mov_b32_e32 v8, s31
	global_load_dwordx2 v[1:2], v[1:2], off glc slc
	v_mov_b32_e32 v9, s25
	s_waitcnt vmcnt(1)
	v_subrev_u32_e32 v3, s34, v3
	v_ashrrev_i32_e32 v4, 31, v3
	v_lshlrev_b64 v[3:4], 3, v[3:4]
	v_add_co_u32_e32 v3, vcc, s30, v3
	v_addc_co_u32_e32 v4, vcc, v8, v4, vcc
	global_load_dwordx2 v[3:4], v[3:4], off
	v_add_co_u32_e32 v8, vcc, s24, v10
	v_addc_co_u32_e32 v9, vcc, v9, v11, vcc
	global_load_dword v8, v[8:9], off glc slc
	s_waitcnt vmcnt(1)
	v_mul_f64 v[1:2], v[1:2], v[3:4]
	s_waitcnt vmcnt(0)
	v_subrev_u32_e32 v3, s34, v8
.LBB16_5:
	s_or_b64 exec, exec, s[0:1]
	v_lshlrev_b32_e32 v4, 2, v0
	v_or_b32_e32 v16, 0x800, v4
	v_lshlrev_b32_e32 v17, 3, v0
	v_cmp_eq_u32_e64 s[18:19], 0, v0
	v_cmp_ne_u32_e64 s[0:1], 0, v0
	v_add_u32_e32 v18, -4, v16
	ds_write_b32 v4, v3 offset:2048
	ds_write_b64 v17, v[1:2]
	s_waitcnt lgkmcnt(0)
	s_barrier
	s_and_saveexec_b64 s[2:3], s[0:1]
	s_cbranch_execz .LBB16_9
; %bb.6:
	ds_read_b32 v4, v18
	s_waitcnt lgkmcnt(0)
	v_cmp_eq_u32_e32 vcc, v3, v4
	s_and_saveexec_b64 s[6:7], vcc
	s_cbranch_execz .LBB16_8
; %bb.7:
	v_add_u32_e32 v4, -8, v17
	ds_read_b64 v[8:9], v4
	s_waitcnt lgkmcnt(0)
	v_add_f64 v[1:2], v[1:2], v[8:9]
.LBB16_8:
	s_or_b64 exec, exec, s[6:7]
.LBB16_9:
	s_or_b64 exec, exec, s[2:3]
	v_cmp_lt_u32_e64 s[2:3], 1, v0
	v_add_u32_e32 v19, -8, v16
	s_barrier
	ds_write_b64 v17, v[1:2]
	s_waitcnt lgkmcnt(0)
	s_barrier
	s_and_saveexec_b64 s[6:7], s[2:3]
	s_cbranch_execz .LBB16_13
; %bb.10:
	ds_read_b32 v4, v19
	s_waitcnt lgkmcnt(0)
	v_cmp_eq_u32_e32 vcc, v3, v4
	s_and_saveexec_b64 s[8:9], vcc
	s_cbranch_execz .LBB16_12
; %bb.11:
	v_add_u32_e32 v4, -16, v17
	ds_read_b64 v[8:9], v4
	s_waitcnt lgkmcnt(0)
	v_add_f64 v[1:2], v[1:2], v[8:9]
.LBB16_12:
	s_or_b64 exec, exec, s[8:9]
.LBB16_13:
	s_or_b64 exec, exec, s[6:7]
	v_cmp_lt_u32_e64 s[20:21], 3, v0
	v_add_u32_e32 v20, -16, v16
	s_barrier
	ds_write_b64 v17, v[1:2]
	s_waitcnt lgkmcnt(0)
	s_barrier
	s_and_saveexec_b64 s[6:7], s[20:21]
	s_cbranch_execz .LBB16_17
; %bb.14:
	ds_read_b32 v4, v20
	s_waitcnt lgkmcnt(0)
	v_cmp_eq_u32_e32 vcc, v3, v4
	s_and_saveexec_b64 s[8:9], vcc
	s_cbranch_execz .LBB16_16
; %bb.15:
	v_subrev_u32_e32 v4, 32, v17
	ds_read_b64 v[8:9], v4
	s_waitcnt lgkmcnt(0)
	v_add_f64 v[1:2], v[1:2], v[8:9]
.LBB16_16:
	s_or_b64 exec, exec, s[8:9]
.LBB16_17:
	s_or_b64 exec, exec, s[6:7]
	v_cmp_lt_u32_e64 s[6:7], 7, v0
	v_subrev_u32_e32 v21, 32, v16
	s_barrier
	ds_write_b64 v17, v[1:2]
	s_waitcnt lgkmcnt(0)
	s_barrier
	s_and_saveexec_b64 s[8:9], s[6:7]
	s_cbranch_execz .LBB16_21
; %bb.18:
	ds_read_b32 v4, v21
	s_waitcnt lgkmcnt(0)
	v_cmp_eq_u32_e32 vcc, v3, v4
	s_and_saveexec_b64 s[10:11], vcc
	s_cbranch_execz .LBB16_20
; %bb.19:
	v_subrev_u32_e32 v4, 64, v17
	ds_read_b64 v[8:9], v4
	s_waitcnt lgkmcnt(0)
	v_add_f64 v[1:2], v[1:2], v[8:9]
.LBB16_20:
	s_or_b64 exec, exec, s[10:11]
.LBB16_21:
	s_or_b64 exec, exec, s[8:9]
	v_cmp_lt_u32_e64 s[8:9], 15, v0
	v_subrev_u32_e32 v22, 64, v16
	s_barrier
	ds_write_b64 v17, v[1:2]
	s_waitcnt lgkmcnt(0)
	s_barrier
	s_and_saveexec_b64 s[10:11], s[8:9]
	s_cbranch_execz .LBB16_25
; %bb.22:
	ds_read_b32 v4, v22
	s_waitcnt lgkmcnt(0)
	v_cmp_eq_u32_e32 vcc, v3, v4
	s_and_saveexec_b64 s[12:13], vcc
	s_cbranch_execz .LBB16_24
; %bb.23:
	v_add_u32_e32 v4, 0xffffff80, v17
	ds_read_b64 v[8:9], v4
	s_waitcnt lgkmcnt(0)
	v_add_f64 v[1:2], v[1:2], v[8:9]
.LBB16_24:
	s_or_b64 exec, exec, s[12:13]
.LBB16_25:
	s_or_b64 exec, exec, s[10:11]
	v_cmp_lt_u32_e64 s[10:11], 31, v0
	s_barrier
	ds_write_b64 v17, v[1:2]
	s_waitcnt lgkmcnt(0)
	s_barrier
	s_and_saveexec_b64 s[12:13], s[10:11]
	s_cbranch_execz .LBB16_29
; %bb.26:
	v_add_u32_e32 v4, 0xffffff80, v16
	ds_read_b32 v4, v4
	s_waitcnt lgkmcnt(0)
	v_cmp_eq_u32_e32 vcc, v3, v4
	s_and_saveexec_b64 s[14:15], vcc
	s_cbranch_execz .LBB16_28
; %bb.27:
	v_add_u32_e32 v4, 0xffffff00, v17
	ds_read_b64 v[8:9], v4
	s_waitcnt lgkmcnt(0)
	v_add_f64 v[1:2], v[1:2], v[8:9]
.LBB16_28:
	s_or_b64 exec, exec, s[14:15]
.LBB16_29:
	s_or_b64 exec, exec, s[12:13]
	v_cmp_lt_u32_e64 s[12:13], 63, v0
	s_barrier
	ds_write_b64 v17, v[1:2]
	s_waitcnt lgkmcnt(0)
	s_barrier
	s_and_saveexec_b64 s[14:15], s[12:13]
	s_cbranch_execz .LBB16_33
; %bb.30:
	v_add_u32_e32 v4, 0xffffff00, v16
	ds_read_b32 v4, v4
	s_waitcnt lgkmcnt(0)
	v_cmp_eq_u32_e32 vcc, v3, v4
	s_and_saveexec_b64 s[16:17], vcc
	s_cbranch_execz .LBB16_32
; %bb.31:
	v_add_u32_e32 v4, 0xfffffe00, v17
	ds_read_b64 v[8:9], v4
	s_waitcnt lgkmcnt(0)
	v_add_f64 v[1:2], v[1:2], v[8:9]
.LBB16_32:
	s_or_b64 exec, exec, s[16:17]
.LBB16_33:
	s_or_b64 exec, exec, s[14:15]
	s_load_dwordx2 s[22:23], s[4:5], 0x30
	s_movk_i32 s4, 0x7f
	v_cmp_lt_u32_e64 s[14:15], s4, v0
	s_waitcnt lgkmcnt(0)
	s_barrier
	ds_write_b64 v17, v[1:2]
	s_waitcnt lgkmcnt(0)
	s_barrier
	s_and_saveexec_b64 s[4:5], s[14:15]
	s_cbranch_execz .LBB16_37
; %bb.34:
	v_add_u32_e32 v4, 0xfffffe00, v16
	ds_read_b32 v4, v4
	s_waitcnt lgkmcnt(0)
	v_cmp_eq_u32_e32 vcc, v3, v4
	s_and_saveexec_b64 s[16:17], vcc
	s_cbranch_execz .LBB16_36
; %bb.35:
	v_add_u32_e32 v4, 0xfffffc00, v17
	ds_read_b64 v[8:9], v4
	s_waitcnt lgkmcnt(0)
	v_add_f64 v[1:2], v[1:2], v[8:9]
.LBB16_36:
	s_or_b64 exec, exec, s[16:17]
.LBB16_37:
	s_or_b64 exec, exec, s[4:5]
	s_movk_i32 s4, 0xff
	v_cmp_gt_u32_e64 s[16:17], s4, v0
	s_barrier
	ds_write_b64 v17, v[1:2]
	s_waitcnt lgkmcnt(0)
	s_barrier
	s_and_saveexec_b64 s[38:39], s[16:17]
	s_cbranch_execz .LBB16_41
; %bb.38:
	ds_read_b32 v4, v16 offset:4
	v_cmp_lt_i32_e64 s[4:5], -1, v3
	s_waitcnt lgkmcnt(0)
	v_cmp_ne_u32_e32 vcc, v3, v4
	s_and_b64 s[4:5], s[4:5], vcc
	s_and_b64 exec, exec, s[4:5]
	s_cbranch_execz .LBB16_41
; %bb.39:
	v_mov_b32_e32 v4, 0
	v_lshlrev_b64 v[3:4], 3, v[3:4]
	v_mov_b32_e32 v9, s23
	v_add_co_u32_e32 v8, vcc, s22, v3
	v_addc_co_u32_e32 v9, vcc, v9, v4, vcc
	global_load_dwordx2 v[3:4], v[8:9], off
	v_mul_f64 v[14:15], v[5:6], v[1:2]
	s_mov_b64 s[4:5], 0
.LBB16_40:                              ; =>This Inner Loop Header: Depth=1
	s_waitcnt vmcnt(0)
	v_add_f64 v[1:2], v[3:4], v[14:15]
	global_atomic_cmpswap_x2 v[1:2], v[8:9], v[1:4], off glc
	s_waitcnt vmcnt(0)
	v_cmp_eq_u64_e32 vcc, v[1:2], v[3:4]
	v_mov_b32_e32 v4, v2
	s_or_b64 s[4:5], vcc, s[4:5]
	v_mov_b32_e32 v3, v1
	s_andn2_b64 exec, exec, s[4:5]
	s_cbranch_execnz .LBB16_40
.LBB16_41:
	s_or_b64 exec, exec, s[38:39]
	v_add_co_u32_e32 v1, vcc, 0x100, v7
	v_addc_co_u32_e64 v2, s[4:5], 0, 0, vcc
	v_cmp_gt_i64_e32 vcc, s[36:37], v[1:2]
	v_mov_b32_e32 v7, 0
	v_mov_b32_e32 v8, 0
	v_mov_b32_e32 v9, -1
	s_and_saveexec_b64 s[4:5], vcc
	s_cbranch_execz .LBB16_43
; %bb.42:
	v_mov_b32_e32 v2, s27
	v_add_co_u32_e32 v1, vcc, s26, v10
	v_addc_co_u32_e32 v2, vcc, v2, v11, vcc
	global_load_dword v3, v[1:2], off offset:1024 glc slc
	v_mov_b32_e32 v2, s29
	v_add_co_u32_e32 v1, vcc, s28, v12
	v_addc_co_u32_e32 v2, vcc, v2, v13, vcc
	v_mov_b32_e32 v7, s31
	global_load_dwordx2 v[1:2], v[1:2], off offset:2048 glc slc
	v_mov_b32_e32 v8, s25
	s_waitcnt vmcnt(1)
	v_subrev_u32_e32 v3, s34, v3
	v_ashrrev_i32_e32 v4, 31, v3
	v_lshlrev_b64 v[3:4], 3, v[3:4]
	v_add_co_u32_e32 v3, vcc, s30, v3
	v_addc_co_u32_e32 v4, vcc, v7, v4, vcc
	global_load_dwordx2 v[3:4], v[3:4], off
	v_add_co_u32_e32 v7, vcc, s24, v10
	v_addc_co_u32_e32 v8, vcc, v8, v11, vcc
	global_load_dword v9, v[7:8], off offset:1024 glc slc
	s_waitcnt vmcnt(1)
	v_mul_f64 v[7:8], v[1:2], v[3:4]
	s_waitcnt vmcnt(0)
	v_subrev_u32_e32 v9, s34, v9
.LBB16_43:
	s_or_b64 exec, exec, s[4:5]
	s_and_saveexec_b64 s[4:5], s[18:19]
	s_cbranch_execz .LBB16_56
; %bb.44:
	v_mov_b32_e32 v1, 0
	ds_read_b32 v1, v1 offset:3068
	s_waitcnt lgkmcnt(0)
	v_readfirstlane_b32 s24, v1
	v_cmp_ne_u32_e32 vcc, v9, v1
	s_and_saveexec_b64 s[18:19], vcc
	s_xor_b64 s[18:19], exec, s[18:19]
	s_cbranch_execz .LBB16_53
; %bb.45:
	s_cmp_lt_i32 s24, 0
	s_cbranch_scc1 .LBB16_53
; %bb.46:
	v_mov_b32_e32 v1, 0
	ds_read_b64 v[1:2], v1 offset:2040
	v_mov_b32_e32 v10, 0
	s_mov_b64 s[26:27], exec
	v_bfrev_b32_e32 v11, 1
	s_waitcnt lgkmcnt(0)
	v_mul_f64 v[1:2], v[5:6], v[1:2]
.LBB16_47:                              ; =>This Inner Loop Header: Depth=1
	s_ff1_i32_b64 s25, s[26:27]
	v_readlane_b32 s29, v2, s25
	v_readlane_b32 s28, v1, s25
	v_add_f64 v[10:11], v[10:11], s[28:29]
	s_lshl_b64 s[28:29], 1, s25
	s_andn2_b64 s[26:27], s[26:27], s[28:29]
	s_cmp_lg_u64 s[26:27], 0
	s_cbranch_scc1 .LBB16_47
; %bb.48:
	v_mbcnt_lo_u32_b32 v1, exec_lo, 0
	v_mbcnt_hi_u32_b32 v1, exec_hi, v1
	s_mov_b32 s25, 0
	v_cmp_eq_u32_e32 vcc, 0, v1
	s_and_saveexec_b64 s[26:27], vcc
	s_xor_b64 s[26:27], exec, s[26:27]
	s_cbranch_execz .LBB16_52
; %bb.49:
	s_lshl_b64 s[24:25], s[24:25], 3
	s_add_u32 s24, s22, s24
	s_addc_u32 s25, s23, s25
	v_mov_b32_e32 v12, 0
	global_load_dwordx2 v[3:4], v12, s[24:25]
	s_mov_b64 s[28:29], 0
.LBB16_50:                              ; =>This Inner Loop Header: Depth=1
	s_waitcnt vmcnt(0)
	v_add_f64 v[1:2], v[3:4], v[10:11]
	global_atomic_cmpswap_x2 v[1:2], v12, v[1:4], s[24:25] glc
	s_waitcnt vmcnt(0)
	v_cmp_eq_u64_e32 vcc, v[1:2], v[3:4]
	v_mov_b32_e32 v4, v2
	s_or_b64 s[28:29], vcc, s[28:29]
	v_mov_b32_e32 v3, v1
	s_andn2_b64 exec, exec, s[28:29]
	s_cbranch_execnz .LBB16_50
; %bb.51:
	s_or_b64 exec, exec, s[28:29]
.LBB16_52:
	s_or_b64 exec, exec, s[26:27]
.LBB16_53:
	s_andn2_saveexec_b64 s[18:19], s[18:19]
	s_cbranch_execz .LBB16_55
; %bb.54:
	v_mov_b32_e32 v1, 0
	ds_read_b64 v[1:2], v1 offset:2040
	s_waitcnt lgkmcnt(0)
	v_add_f64 v[7:8], v[7:8], v[1:2]
.LBB16_55:
	s_or_b64 exec, exec, s[18:19]
.LBB16_56:
	s_or_b64 exec, exec, s[4:5]
	s_barrier
	ds_write_b32 v16, v9
	ds_write_b64 v17, v[7:8]
	s_waitcnt lgkmcnt(0)
	s_barrier
	s_and_saveexec_b64 s[4:5], s[0:1]
	s_cbranch_execz .LBB16_60
; %bb.57:
	ds_read_b32 v1, v18
	s_waitcnt lgkmcnt(0)
	v_cmp_eq_u32_e32 vcc, v9, v1
	s_and_saveexec_b64 s[0:1], vcc
	s_cbranch_execz .LBB16_59
; %bb.58:
	v_add_u32_e32 v1, -8, v17
	ds_read_b64 v[1:2], v1
	s_waitcnt lgkmcnt(0)
	v_add_f64 v[7:8], v[7:8], v[1:2]
.LBB16_59:
	s_or_b64 exec, exec, s[0:1]
.LBB16_60:
	s_or_b64 exec, exec, s[4:5]
	s_barrier
	ds_write_b64 v17, v[7:8]
	s_waitcnt lgkmcnt(0)
	s_barrier
	s_and_saveexec_b64 s[0:1], s[2:3]
	s_cbranch_execz .LBB16_64
; %bb.61:
	ds_read_b32 v1, v19
	s_waitcnt lgkmcnt(0)
	v_cmp_eq_u32_e32 vcc, v9, v1
	s_and_saveexec_b64 s[2:3], vcc
	s_cbranch_execz .LBB16_63
; %bb.62:
	v_add_u32_e32 v1, -16, v17
	ds_read_b64 v[1:2], v1
	s_waitcnt lgkmcnt(0)
	v_add_f64 v[7:8], v[7:8], v[1:2]
.LBB16_63:
	s_or_b64 exec, exec, s[2:3]
.LBB16_64:
	s_or_b64 exec, exec, s[0:1]
	s_barrier
	ds_write_b64 v17, v[7:8]
	s_waitcnt lgkmcnt(0)
	s_barrier
	s_and_saveexec_b64 s[0:1], s[20:21]
	s_cbranch_execz .LBB16_68
; %bb.65:
	ds_read_b32 v1, v20
	s_waitcnt lgkmcnt(0)
	v_cmp_eq_u32_e32 vcc, v9, v1
	s_and_saveexec_b64 s[2:3], vcc
	s_cbranch_execz .LBB16_67
; %bb.66:
	v_subrev_u32_e32 v1, 32, v17
	ds_read_b64 v[1:2], v1
	s_waitcnt lgkmcnt(0)
	v_add_f64 v[7:8], v[7:8], v[1:2]
.LBB16_67:
	s_or_b64 exec, exec, s[2:3]
.LBB16_68:
	s_or_b64 exec, exec, s[0:1]
	s_barrier
	ds_write_b64 v17, v[7:8]
	s_waitcnt lgkmcnt(0)
	s_barrier
	s_and_saveexec_b64 s[0:1], s[6:7]
	s_cbranch_execz .LBB16_72
; %bb.69:
	ds_read_b32 v1, v21
	s_waitcnt lgkmcnt(0)
	v_cmp_eq_u32_e32 vcc, v9, v1
	s_and_saveexec_b64 s[2:3], vcc
	s_cbranch_execz .LBB16_71
; %bb.70:
	v_subrev_u32_e32 v1, 64, v17
	ds_read_b64 v[1:2], v1
	s_waitcnt lgkmcnt(0)
	v_add_f64 v[7:8], v[7:8], v[1:2]
.LBB16_71:
	s_or_b64 exec, exec, s[2:3]
.LBB16_72:
	s_or_b64 exec, exec, s[0:1]
	s_barrier
	ds_write_b64 v17, v[7:8]
	s_waitcnt lgkmcnt(0)
	s_barrier
	s_and_saveexec_b64 s[0:1], s[8:9]
	s_cbranch_execz .LBB16_76
; %bb.73:
	ds_read_b32 v1, v22
	s_waitcnt lgkmcnt(0)
	v_cmp_eq_u32_e32 vcc, v9, v1
	s_and_saveexec_b64 s[2:3], vcc
	s_cbranch_execz .LBB16_75
; %bb.74:
	v_add_u32_e32 v1, 0xffffff80, v17
	ds_read_b64 v[1:2], v1
	s_waitcnt lgkmcnt(0)
	v_add_f64 v[7:8], v[7:8], v[1:2]
.LBB16_75:
	s_or_b64 exec, exec, s[2:3]
.LBB16_76:
	s_or_b64 exec, exec, s[0:1]
	s_barrier
	ds_write_b64 v17, v[7:8]
	s_waitcnt lgkmcnt(0)
	s_barrier
	s_and_saveexec_b64 s[0:1], s[10:11]
	s_cbranch_execz .LBB16_80
; %bb.77:
	v_add_u32_e32 v1, 0xffffff80, v16
	ds_read_b32 v1, v1
	s_waitcnt lgkmcnt(0)
	v_cmp_eq_u32_e32 vcc, v9, v1
	s_and_saveexec_b64 s[2:3], vcc
	s_cbranch_execz .LBB16_79
; %bb.78:
	v_add_u32_e32 v1, 0xffffff00, v17
	ds_read_b64 v[1:2], v1
	s_waitcnt lgkmcnt(0)
	v_add_f64 v[7:8], v[7:8], v[1:2]
.LBB16_79:
	s_or_b64 exec, exec, s[2:3]
.LBB16_80:
	s_or_b64 exec, exec, s[0:1]
	s_barrier
	ds_write_b64 v17, v[7:8]
	s_waitcnt lgkmcnt(0)
	s_barrier
	s_and_saveexec_b64 s[0:1], s[12:13]
	s_cbranch_execz .LBB16_84
; %bb.81:
	v_add_u32_e32 v1, 0xffffff00, v16
	ds_read_b32 v1, v1
	s_waitcnt lgkmcnt(0)
	v_cmp_eq_u32_e32 vcc, v9, v1
	s_and_saveexec_b64 s[2:3], vcc
	s_cbranch_execz .LBB16_83
; %bb.82:
	v_add_u32_e32 v1, 0xfffffe00, v17
	ds_read_b64 v[1:2], v1
	s_waitcnt lgkmcnt(0)
	v_add_f64 v[7:8], v[7:8], v[1:2]
.LBB16_83:
	s_or_b64 exec, exec, s[2:3]
.LBB16_84:
	;; [unrolled: 22-line block ×3, first 2 shown]
	s_or_b64 exec, exec, s[0:1]
	s_barrier
	ds_write_b64 v17, v[7:8]
	s_waitcnt lgkmcnt(0)
	s_barrier
	s_and_saveexec_b64 s[2:3], s[16:17]
	s_cbranch_execz .LBB16_92
; %bb.89:
	ds_read_b32 v1, v16 offset:4
	v_cmp_lt_i32_e64 s[0:1], -1, v9
	s_waitcnt lgkmcnt(0)
	v_cmp_ne_u32_e32 vcc, v9, v1
	s_and_b64 s[0:1], s[0:1], vcc
	s_and_b64 exec, exec, s[0:1]
	s_cbranch_execz .LBB16_92
; %bb.90:
	v_mov_b32_e32 v10, 0
	v_lshlrev_b64 v[1:2], 3, v[9:10]
	v_mov_b32_e32 v3, s23
	v_add_co_u32_e32 v10, vcc, s22, v1
	v_addc_co_u32_e32 v11, vcc, v3, v2, vcc
	global_load_dwordx2 v[3:4], v[10:11], off
	v_mul_f64 v[12:13], v[5:6], v[7:8]
	s_mov_b64 s[0:1], 0
.LBB16_91:                              ; =>This Inner Loop Header: Depth=1
	s_waitcnt vmcnt(0)
	v_add_f64 v[1:2], v[3:4], v[12:13]
	global_atomic_cmpswap_x2 v[1:2], v[10:11], v[1:4], off glc
	s_waitcnt vmcnt(0)
	v_cmp_eq_u64_e32 vcc, v[1:2], v[3:4]
	v_mov_b32_e32 v4, v2
	s_or_b64 s[0:1], vcc, s[0:1]
	v_mov_b32_e32 v3, v1
	s_andn2_b64 exec, exec, s[0:1]
	s_cbranch_execnz .LBB16_91
.LBB16_92:
	s_or_b64 exec, exec, s[2:3]
	s_movk_i32 s0, 0xff
	v_cmp_eq_u32_e32 vcc, s0, v0
	v_cmp_lt_i32_e64 s[0:1], -1, v9
	s_and_b64 s[0:1], vcc, s[0:1]
	s_and_b64 exec, exec, s[0:1]
	s_cbranch_execz .LBB16_95
; %bb.93:
	v_mov_b32_e32 v10, 0
	v_lshlrev_b64 v[0:1], 3, v[9:10]
	v_mov_b32_e32 v2, s23
	v_add_co_u32_e32 v9, vcc, s22, v0
	v_addc_co_u32_e32 v10, vcc, v2, v1, vcc
	global_load_dwordx2 v[2:3], v[9:10], off
	v_mul_f64 v[4:5], v[5:6], v[7:8]
	s_mov_b64 s[0:1], 0
.LBB16_94:                              ; =>This Inner Loop Header: Depth=1
	s_waitcnt vmcnt(0)
	v_add_f64 v[0:1], v[2:3], v[4:5]
	global_atomic_cmpswap_x2 v[0:1], v[9:10], v[0:3], off glc
	s_waitcnt vmcnt(0)
	v_cmp_eq_u64_e32 vcc, v[0:1], v[2:3]
	v_mov_b32_e32 v3, v1
	s_or_b64 s[0:1], vcc, s[0:1]
	v_mov_b32_e32 v2, v0
	s_andn2_b64 exec, exec, s[0:1]
	s_cbranch_execnz .LBB16_94
.LBB16_95:
	s_endpgm
	.section	.rodata,"a",@progbits
	.p2align	6, 0x0
	.amdhsa_kernel _ZN9rocsparseL19coomvn_atomic_loopsILj256ELj2EiddddEEvlNS_24const_host_device_scalarIT5_EEPKT1_S6_PKT2_PKT3_PT4_21rocsparse_index_base_b
		.amdhsa_group_segment_fixed_size 3072
		.amdhsa_private_segment_fixed_size 0
		.amdhsa_kernarg_size 64
		.amdhsa_user_sgpr_count 6
		.amdhsa_user_sgpr_private_segment_buffer 1
		.amdhsa_user_sgpr_dispatch_ptr 0
		.amdhsa_user_sgpr_queue_ptr 0
		.amdhsa_user_sgpr_kernarg_segment_ptr 1
		.amdhsa_user_sgpr_dispatch_id 0
		.amdhsa_user_sgpr_flat_scratch_init 0
		.amdhsa_user_sgpr_private_segment_size 0
		.amdhsa_uses_dynamic_stack 0
		.amdhsa_system_sgpr_private_segment_wavefront_offset 0
		.amdhsa_system_sgpr_workgroup_id_x 1
		.amdhsa_system_sgpr_workgroup_id_y 0
		.amdhsa_system_sgpr_workgroup_id_z 0
		.amdhsa_system_sgpr_workgroup_info 0
		.amdhsa_system_vgpr_workitem_id 0
		.amdhsa_next_free_vgpr 23
		.amdhsa_next_free_sgpr 40
		.amdhsa_reserve_vcc 1
		.amdhsa_reserve_flat_scratch 0
		.amdhsa_float_round_mode_32 0
		.amdhsa_float_round_mode_16_64 0
		.amdhsa_float_denorm_mode_32 3
		.amdhsa_float_denorm_mode_16_64 3
		.amdhsa_dx10_clamp 1
		.amdhsa_ieee_mode 1
		.amdhsa_fp16_overflow 0
		.amdhsa_exception_fp_ieee_invalid_op 0
		.amdhsa_exception_fp_denorm_src 0
		.amdhsa_exception_fp_ieee_div_zero 0
		.amdhsa_exception_fp_ieee_overflow 0
		.amdhsa_exception_fp_ieee_underflow 0
		.amdhsa_exception_fp_ieee_inexact 0
		.amdhsa_exception_int_div_zero 0
	.end_amdhsa_kernel
	.section	.text._ZN9rocsparseL19coomvn_atomic_loopsILj256ELj2EiddddEEvlNS_24const_host_device_scalarIT5_EEPKT1_S6_PKT2_PKT3_PT4_21rocsparse_index_base_b,"axG",@progbits,_ZN9rocsparseL19coomvn_atomic_loopsILj256ELj2EiddddEEvlNS_24const_host_device_scalarIT5_EEPKT1_S6_PKT2_PKT3_PT4_21rocsparse_index_base_b,comdat
.Lfunc_end16:
	.size	_ZN9rocsparseL19coomvn_atomic_loopsILj256ELj2EiddddEEvlNS_24const_host_device_scalarIT5_EEPKT1_S6_PKT2_PKT3_PT4_21rocsparse_index_base_b, .Lfunc_end16-_ZN9rocsparseL19coomvn_atomic_loopsILj256ELj2EiddddEEvlNS_24const_host_device_scalarIT5_EEPKT1_S6_PKT2_PKT3_PT4_21rocsparse_index_base_b
                                        ; -- End function
	.set _ZN9rocsparseL19coomvn_atomic_loopsILj256ELj2EiddddEEvlNS_24const_host_device_scalarIT5_EEPKT1_S6_PKT2_PKT3_PT4_21rocsparse_index_base_b.num_vgpr, 23
	.set _ZN9rocsparseL19coomvn_atomic_loopsILj256ELj2EiddddEEvlNS_24const_host_device_scalarIT5_EEPKT1_S6_PKT2_PKT3_PT4_21rocsparse_index_base_b.num_agpr, 0
	.set _ZN9rocsparseL19coomvn_atomic_loopsILj256ELj2EiddddEEvlNS_24const_host_device_scalarIT5_EEPKT1_S6_PKT2_PKT3_PT4_21rocsparse_index_base_b.numbered_sgpr, 40
	.set _ZN9rocsparseL19coomvn_atomic_loopsILj256ELj2EiddddEEvlNS_24const_host_device_scalarIT5_EEPKT1_S6_PKT2_PKT3_PT4_21rocsparse_index_base_b.num_named_barrier, 0
	.set _ZN9rocsparseL19coomvn_atomic_loopsILj256ELj2EiddddEEvlNS_24const_host_device_scalarIT5_EEPKT1_S6_PKT2_PKT3_PT4_21rocsparse_index_base_b.private_seg_size, 0
	.set _ZN9rocsparseL19coomvn_atomic_loopsILj256ELj2EiddddEEvlNS_24const_host_device_scalarIT5_EEPKT1_S6_PKT2_PKT3_PT4_21rocsparse_index_base_b.uses_vcc, 1
	.set _ZN9rocsparseL19coomvn_atomic_loopsILj256ELj2EiddddEEvlNS_24const_host_device_scalarIT5_EEPKT1_S6_PKT2_PKT3_PT4_21rocsparse_index_base_b.uses_flat_scratch, 0
	.set _ZN9rocsparseL19coomvn_atomic_loopsILj256ELj2EiddddEEvlNS_24const_host_device_scalarIT5_EEPKT1_S6_PKT2_PKT3_PT4_21rocsparse_index_base_b.has_dyn_sized_stack, 0
	.set _ZN9rocsparseL19coomvn_atomic_loopsILj256ELj2EiddddEEvlNS_24const_host_device_scalarIT5_EEPKT1_S6_PKT2_PKT3_PT4_21rocsparse_index_base_b.has_recursion, 0
	.set _ZN9rocsparseL19coomvn_atomic_loopsILj256ELj2EiddddEEvlNS_24const_host_device_scalarIT5_EEPKT1_S6_PKT2_PKT3_PT4_21rocsparse_index_base_b.has_indirect_call, 0
	.section	.AMDGPU.csdata,"",@progbits
; Kernel info:
; codeLenInByte = 2736
; TotalNumSgprs: 44
; NumVgprs: 23
; ScratchSize: 0
; MemoryBound: 0
; FloatMode: 240
; IeeeMode: 1
; LDSByteSize: 3072 bytes/workgroup (compile time only)
; SGPRBlocks: 5
; VGPRBlocks: 5
; NumSGPRsForWavesPerEU: 44
; NumVGPRsForWavesPerEU: 23
; Occupancy: 10
; WaveLimiterHint : 1
; COMPUTE_PGM_RSRC2:SCRATCH_EN: 0
; COMPUTE_PGM_RSRC2:USER_SGPR: 6
; COMPUTE_PGM_RSRC2:TRAP_HANDLER: 0
; COMPUTE_PGM_RSRC2:TGID_X_EN: 1
; COMPUTE_PGM_RSRC2:TGID_Y_EN: 0
; COMPUTE_PGM_RSRC2:TGID_Z_EN: 0
; COMPUTE_PGM_RSRC2:TIDIG_COMP_CNT: 0
	.section	.text._ZN9rocsparseL22coomvn_segmented_loopsILj256ElddddEEvlT0_NS_24const_host_device_scalarIT4_EEPKS1_S6_PKT1_PKT2_PT3_PS1_PS3_21rocsparse_index_base_b,"axG",@progbits,_ZN9rocsparseL22coomvn_segmented_loopsILj256ElddddEEvlT0_NS_24const_host_device_scalarIT4_EEPKS1_S6_PKT1_PKT2_PT3_PS1_PS3_21rocsparse_index_base_b,comdat
	.globl	_ZN9rocsparseL22coomvn_segmented_loopsILj256ElddddEEvlT0_NS_24const_host_device_scalarIT4_EEPKS1_S6_PKT1_PKT2_PT3_PS1_PS3_21rocsparse_index_base_b ; -- Begin function _ZN9rocsparseL22coomvn_segmented_loopsILj256ElddddEEvlT0_NS_24const_host_device_scalarIT4_EEPKS1_S6_PKT1_PKT2_PT3_PS1_PS3_21rocsparse_index_base_b
	.p2align	8
	.type	_ZN9rocsparseL22coomvn_segmented_loopsILj256ElddddEEvlT0_NS_24const_host_device_scalarIT4_EEPKS1_S6_PKT1_PKT2_PT3_PS1_PS3_21rocsparse_index_base_b,@function
_ZN9rocsparseL22coomvn_segmented_loopsILj256ElddddEEvlT0_NS_24const_host_device_scalarIT4_EEPKS1_S6_PKT1_PKT2_PT3_PS1_PS3_21rocsparse_index_base_b: ; @_ZN9rocsparseL22coomvn_segmented_loopsILj256ElddddEEvlT0_NS_24const_host_device_scalarIT4_EEPKS1_S6_PKT1_PKT2_PT3_PS1_PS3_21rocsparse_index_base_b
; %bb.0:
	s_load_dwordx2 s[34:35], s[4:5], 0x50
	s_load_dwordx2 s[0:1], s[4:5], 0x10
	s_waitcnt lgkmcnt(0)
	s_bitcmp1_b32 s35, 0
	s_cselect_b64 s[2:3], -1, 0
	v_mov_b32_e32 v2, s1
	s_and_b64 vcc, exec, s[2:3]
	v_mov_b32_e32 v1, s0
	s_cbranch_vccnz .LBB17_2
; %bb.1:
	v_mov_b32_e32 v2, s1
	v_mov_b32_e32 v1, s0
	flat_load_dwordx2 v[1:2], v[1:2]
.LBB17_2:
	s_waitcnt vmcnt(0) lgkmcnt(0)
	v_cmp_neq_f64_e32 vcc, 0, v[1:2]
	s_and_saveexec_b64 s[0:1], vcc
	s_cbranch_execz .LBB17_89
; %bb.3:
	s_load_dwordx4 s[28:31], s[4:5], 0x0
	s_load_dwordx8 s[36:43], s[4:5], 0x18
	v_mov_b32_e32 v5, 0
	v_mov_b32_e32 v3, -1
	v_mov_b32_e32 v6, 0
	s_waitcnt lgkmcnt(0)
	s_mul_i32 s1, s6, s31
	s_mul_hi_u32 s2, s6, s30
	s_mul_i32 s0, s6, s30
	s_add_i32 s1, s2, s1
	s_lshl_b64 s[0:1], s[0:1], 8
	v_or_b32_e32 v9, s0, v0
	v_mov_b32_e32 v10, s1
	v_cmp_gt_i64_e32 vcc, s[28:29], v[9:10]
	v_mov_b32_e32 v4, -1
	s_mov_b32 s7, 0
	s_and_saveexec_b64 s[0:1], vcc
	s_cbranch_execz .LBB17_5
; %bb.4:
	v_lshlrev_b64 v[3:4], 3, v[9:10]
	v_mov_b32_e32 v6, s39
	v_add_co_u32_e32 v5, vcc, s38, v3
	v_addc_co_u32_e32 v6, vcc, v6, v4, vcc
	global_load_dwordx2 v[5:6], v[5:6], off glc slc
	v_mov_b32_e32 v8, s41
	v_add_co_u32_e32 v7, vcc, s40, v3
	v_addc_co_u32_e32 v8, vcc, v8, v4, vcc
	v_mov_b32_e32 v12, s43
	s_ashr_i32 s35, s34, 31
	s_lshl_b64 s[2:3], s[34:35], 3
	v_mov_b32_e32 v13, s3
	global_load_dwordx2 v[7:8], v[7:8], off glc slc
	v_mov_b32_e32 v11, s37
	s_waitcnt vmcnt(1)
	v_lshlrev_b64 v[5:6], 3, v[5:6]
	v_add_co_u32_e32 v5, vcc, s42, v5
	v_addc_co_u32_e32 v6, vcc, v12, v6, vcc
	v_subrev_co_u32_e32 v5, vcc, s2, v5
	v_subb_co_u32_e32 v6, vcc, v6, v13, vcc
	global_load_dwordx2 v[5:6], v[5:6], off
	v_add_co_u32_e32 v3, vcc, s36, v3
	v_addc_co_u32_e32 v4, vcc, v11, v4, vcc
	global_load_dwordx2 v[3:4], v[3:4], off glc slc
	s_waitcnt vmcnt(1)
	v_mul_f64 v[5:6], v[7:8], v[5:6]
	s_waitcnt vmcnt(0)
	v_subrev_co_u32_e32 v3, vcc, s34, v3
	v_subbrev_co_u32_e32 v4, vcc, 0, v4, vcc
.LBB17_5:
	s_or_b64 exec, exec, s[0:1]
	v_lshlrev_b32_e32 v17, 3, v0
	v_or_b32_e32 v18, 0x800, v17
	v_cmp_eq_u32_e64 s[0:1], 0, v0
	v_cmp_ne_u32_e64 s[2:3], 0, v0
	v_add_u32_e32 v19, -8, v17
	ds_write2st64_b64 v17, v[3:4], v[5:6] offset1:4
	s_waitcnt lgkmcnt(0)
	s_barrier
	s_and_saveexec_b64 s[8:9], s[2:3]
	s_cbranch_execz .LBB17_9
; %bb.6:
	ds_read_b64 v[7:8], v19
	s_waitcnt lgkmcnt(0)
	v_cmp_eq_u64_e32 vcc, v[3:4], v[7:8]
	s_and_saveexec_b64 s[10:11], vcc
	s_cbranch_execz .LBB17_8
; %bb.7:
	v_add_u32_e32 v7, -8, v18
	ds_read_b64 v[7:8], v7
	s_waitcnt lgkmcnt(0)
	v_add_f64 v[5:6], v[5:6], v[7:8]
.LBB17_8:
	s_or_b64 exec, exec, s[10:11]
.LBB17_9:
	s_or_b64 exec, exec, s[8:9]
	v_cmp_lt_u32_e64 s[22:23], 1, v0
	v_add_u32_e32 v20, -16, v17
	s_barrier
	ds_write_b64 v18, v[5:6]
	s_waitcnt lgkmcnt(0)
	s_barrier
	s_and_saveexec_b64 s[8:9], s[22:23]
	s_cbranch_execz .LBB17_13
; %bb.10:
	ds_read_b64 v[7:8], v20
	s_waitcnt lgkmcnt(0)
	v_cmp_eq_u64_e32 vcc, v[3:4], v[7:8]
	s_and_saveexec_b64 s[10:11], vcc
	s_cbranch_execz .LBB17_12
; %bb.11:
	v_add_u32_e32 v7, -16, v18
	ds_read_b64 v[7:8], v7
	s_waitcnt lgkmcnt(0)
	v_add_f64 v[5:6], v[5:6], v[7:8]
.LBB17_12:
	s_or_b64 exec, exec, s[10:11]
.LBB17_13:
	s_or_b64 exec, exec, s[8:9]
	v_cmp_lt_u32_e64 s[8:9], 3, v0
	v_subrev_u32_e32 v21, 32, v17
	s_barrier
	ds_write_b64 v18, v[5:6]
	s_waitcnt lgkmcnt(0)
	s_barrier
	s_and_saveexec_b64 s[10:11], s[8:9]
	s_cbranch_execz .LBB17_17
; %bb.14:
	ds_read_b64 v[7:8], v21
	s_waitcnt lgkmcnt(0)
	v_cmp_eq_u64_e32 vcc, v[3:4], v[7:8]
	s_and_saveexec_b64 s[12:13], vcc
	s_cbranch_execz .LBB17_16
; %bb.15:
	v_subrev_u32_e32 v7, 32, v18
	ds_read_b64 v[7:8], v7
	s_waitcnt lgkmcnt(0)
	v_add_f64 v[5:6], v[5:6], v[7:8]
.LBB17_16:
	s_or_b64 exec, exec, s[12:13]
.LBB17_17:
	s_or_b64 exec, exec, s[10:11]
	v_cmp_lt_u32_e64 s[10:11], 7, v0
	v_subrev_u32_e32 v22, 64, v17
	s_barrier
	ds_write_b64 v18, v[5:6]
	s_waitcnt lgkmcnt(0)
	s_barrier
	s_and_saveexec_b64 s[12:13], s[10:11]
	s_cbranch_execz .LBB17_21
; %bb.18:
	ds_read_b64 v[7:8], v22
	s_waitcnt lgkmcnt(0)
	v_cmp_eq_u64_e32 vcc, v[3:4], v[7:8]
	s_and_saveexec_b64 s[14:15], vcc
	s_cbranch_execz .LBB17_20
; %bb.19:
	v_subrev_u32_e32 v7, 64, v18
	ds_read_b64 v[7:8], v7
	s_waitcnt lgkmcnt(0)
	v_add_f64 v[5:6], v[5:6], v[7:8]
.LBB17_20:
	s_or_b64 exec, exec, s[14:15]
.LBB17_21:
	s_or_b64 exec, exec, s[12:13]
	v_cmp_lt_u32_e64 s[12:13], 15, v0
	s_barrier
	ds_write_b64 v18, v[5:6]
	s_waitcnt lgkmcnt(0)
	s_barrier
	s_and_saveexec_b64 s[14:15], s[12:13]
	s_cbranch_execz .LBB17_25
; %bb.22:
	v_add_u32_e32 v7, 0xffffff80, v17
	ds_read_b64 v[7:8], v7
	s_waitcnt lgkmcnt(0)
	v_cmp_eq_u64_e32 vcc, v[3:4], v[7:8]
	s_and_saveexec_b64 s[16:17], vcc
	s_cbranch_execz .LBB17_24
; %bb.23:
	v_add_u32_e32 v7, 0xffffff80, v18
	ds_read_b64 v[7:8], v7
	s_waitcnt lgkmcnt(0)
	v_add_f64 v[5:6], v[5:6], v[7:8]
.LBB17_24:
	s_or_b64 exec, exec, s[16:17]
.LBB17_25:
	s_or_b64 exec, exec, s[14:15]
	v_cmp_lt_u32_e64 s[14:15], 31, v0
	s_barrier
	ds_write_b64 v18, v[5:6]
	s_waitcnt lgkmcnt(0)
	s_barrier
	s_and_saveexec_b64 s[16:17], s[14:15]
	s_cbranch_execz .LBB17_29
; %bb.26:
	v_add_u32_e32 v7, 0xffffff00, v17
	ds_read_b64 v[7:8], v7
	s_waitcnt lgkmcnt(0)
	v_cmp_eq_u64_e32 vcc, v[3:4], v[7:8]
	s_and_saveexec_b64 s[18:19], vcc
	s_cbranch_execz .LBB17_28
; %bb.27:
	v_add_u32_e32 v7, 0xffffff00, v18
	ds_read_b64 v[7:8], v7
	s_waitcnt lgkmcnt(0)
	v_add_f64 v[5:6], v[5:6], v[7:8]
.LBB17_28:
	s_or_b64 exec, exec, s[18:19]
.LBB17_29:
	;; [unrolled: 23-line block ×3, first 2 shown]
	s_or_b64 exec, exec, s[18:19]
	s_load_dwordx2 s[44:45], s[4:5], 0x38
	s_movk_i32 s18, 0x7f
	v_cmp_lt_u32_e64 s[18:19], s18, v0
	s_waitcnt lgkmcnt(0)
	s_barrier
	ds_write_b64 v18, v[5:6]
	s_waitcnt lgkmcnt(0)
	s_barrier
	s_and_saveexec_b64 s[20:21], s[18:19]
	s_cbranch_execz .LBB17_37
; %bb.34:
	v_add_u32_e32 v7, 0xfffffc00, v17
	ds_read_b64 v[7:8], v7
	s_waitcnt lgkmcnt(0)
	v_cmp_eq_u64_e32 vcc, v[3:4], v[7:8]
	s_and_saveexec_b64 s[24:25], vcc
	s_cbranch_execz .LBB17_36
; %bb.35:
	v_add_u32_e32 v7, 0xfffffc00, v18
	ds_read_b64 v[7:8], v7
	s_waitcnt lgkmcnt(0)
	v_add_f64 v[5:6], v[5:6], v[7:8]
.LBB17_36:
	s_or_b64 exec, exec, s[24:25]
.LBB17_37:
	s_or_b64 exec, exec, s[20:21]
	s_movk_i32 s20, 0xff
	v_cmp_gt_u32_e64 s[20:21], s20, v0
	s_barrier
	ds_write_b64 v18, v[5:6]
	s_waitcnt lgkmcnt(0)
	s_barrier
	s_and_saveexec_b64 s[26:27], s[20:21]
	s_cbranch_execz .LBB17_40
; %bb.38:
	ds_read_b64 v[7:8], v17 offset:8
	v_cmp_lt_i64_e64 s[24:25], -1, v[3:4]
	s_waitcnt lgkmcnt(0)
	v_cmp_ne_u64_e32 vcc, v[3:4], v[7:8]
	s_and_b64 s[24:25], s[24:25], vcc
	s_and_b64 exec, exec, s[24:25]
	s_cbranch_execz .LBB17_40
; %bb.39:
	v_lshlrev_b64 v[7:8], 3, v[3:4]
	v_mov_b32_e32 v11, s45
	v_add_co_u32_e32 v7, vcc, s44, v7
	v_addc_co_u32_e32 v8, vcc, v11, v8, vcc
	global_load_dwordx2 v[11:12], v[7:8], off
	s_waitcnt vmcnt(0)
	v_fma_f64 v[11:12], v[1:2], v[5:6], v[11:12]
	global_store_dwordx2 v[7:8], v[11:12], off
.LBB17_40:
	s_or_b64 exec, exec, s[26:27]
	s_load_dwordx4 s[24:27], s[4:5], 0x40
	v_cmp_lt_i64_e64 s[4:5], s[30:31], 2
	s_and_b64 vcc, exec, s[4:5]
	s_cbranch_vccnz .LBB17_87
; %bb.41:
	s_add_u32 s46, s30, -1
	s_addc_u32 s47, s31, -1
	s_ashr_i32 s35, s34, 31
	s_lshl_b64 s[4:5], s[34:35], 3
	s_sub_u32 s33, s42, s4
	s_subb_u32 s35, s43, s5
	s_mul_i32 s4, s31, s6
	s_mul_hi_u32 s5, s30, s6
	s_add_i32 s5, s5, s4
	s_mul_i32 s4, s30, s6
	s_lshl_b64 s[4:5], s[4:5], 11
	v_lshl_or_b32 v3, v0, 3, s4
	s_movk_i32 s4, 0x800
	v_mov_b32_e32 v4, s5
	v_add_co_u32_e32 v3, vcc, s4, v3
	v_addc_co_u32_e32 v4, vcc, 0, v4, vcc
	v_mov_b32_e32 v5, s39
	v_add_co_u32_e32 v7, vcc, s38, v3
	v_addc_co_u32_e32 v8, vcc, v5, v4, vcc
	;; [unrolled: 3-line block ×4, first 2 shown]
	s_movk_i32 s4, 0x100
	v_add_co_u32_e32 v9, vcc, s4, v9
	v_subrev_u32_e32 v23, 32, v18
	v_subrev_u32_e32 v24, 64, v18
	v_add_u32_e32 v25, 0xffffff80, v17
	v_add_u32_e32 v26, 0xffffff80, v18
	;; [unrolled: 1-line block ×3, first 2 shown]
	v_addc_co_u32_e32 v10, vcc, 0, v10, vcc
	v_add_u32_e32 v28, 0xffffff00, v18
	v_add_u32_e32 v29, 0xfffffe00, v17
	s_mov_b64 s[30:31], 0
	v_add_u32_e32 v30, 0xfffffe00, v18
	v_add_u32_e32 v31, 0xfffffc00, v17
	;; [unrolled: 1-line block ×3, first 2 shown]
	v_mov_b32_e32 v33, 0
	s_branch .LBB17_43
.LBB17_42:                              ;   in Loop: Header=BB17_43 Depth=1
	s_or_b64 exec, exec, s[36:37]
	v_add_co_u32_e32 v7, vcc, 0x800, v7
	v_addc_co_u32_e32 v8, vcc, 0, v8, vcc
	v_add_co_u32_e32 v11, vcc, 0x800, v11
	v_addc_co_u32_e32 v12, vcc, 0, v12, vcc
	s_add_u32 s30, s30, 1
	v_add_co_u32_e32 v13, vcc, 0x800, v13
	s_addc_u32 s31, s31, 0
	v_mov_b32_e32 v15, s30
	v_addc_co_u32_e32 v14, vcc, 0, v14, vcc
	v_mov_b32_e32 v16, s31
	v_add_co_u32_e32 v9, vcc, 0x100, v9
	v_cmp_le_u64_e64 s[4:5], s[46:47], v[15:16]
	v_addc_co_u32_e32 v10, vcc, 0, v10, vcc
	s_and_b64 vcc, exec, s[4:5]
	s_cbranch_vccnz .LBB17_87
.LBB17_43:                              ; =>This Inner Loop Header: Depth=1
	v_cmp_gt_i64_e32 vcc, s[28:29], v[9:10]
	v_mov_b32_e32 v5, 0
	v_mov_b32_e32 v3, -1
	v_mov_b32_e32 v6, 0
	v_mov_b32_e32 v4, -1
	s_and_saveexec_b64 s[4:5], vcc
	s_cbranch_execz .LBB17_45
; %bb.44:                               ;   in Loop: Header=BB17_43 Depth=1
	global_load_dwordx2 v[3:4], v[7:8], off glc slc
	global_load_dwordx2 v[5:6], v[11:12], off glc slc
	v_mov_b32_e32 v15, s35
	s_waitcnt vmcnt(1)
	v_lshlrev_b64 v[3:4], 3, v[3:4]
	v_add_co_u32_e32 v3, vcc, s33, v3
	v_addc_co_u32_e32 v4, vcc, v15, v4, vcc
	global_load_dwordx2 v[15:16], v[3:4], off
	global_load_dwordx2 v[34:35], v[13:14], off glc slc
	s_waitcnt vmcnt(1)
	v_mul_f64 v[5:6], v[5:6], v[15:16]
	s_waitcnt vmcnt(0)
	v_subrev_co_u32_e32 v3, vcc, s34, v34
	v_subbrev_co_u32_e32 v4, vcc, 0, v35, vcc
.LBB17_45:                              ;   in Loop: Header=BB17_43 Depth=1
	s_or_b64 exec, exec, s[4:5]
	s_and_saveexec_b64 s[4:5], s[0:1]
	s_cbranch_execz .LBB17_52
; %bb.46:                               ;   in Loop: Header=BB17_43 Depth=1
	ds_read_b64 v[15:16], v33 offset:2040
	s_waitcnt lgkmcnt(0)
	v_cmp_ne_u64_e32 vcc, v[3:4], v[15:16]
	s_and_saveexec_b64 s[36:37], vcc
	s_xor_b64 s[36:37], exec, s[36:37]
	s_cbranch_execz .LBB17_49
; %bb.47:                               ;   in Loop: Header=BB17_43 Depth=1
	v_cmp_gt_i64_e32 vcc, 0, v[15:16]
	s_cbranch_vccnz .LBB17_49
; %bb.48:                               ;   in Loop: Header=BB17_43 Depth=1
	v_lshlrev_b64 v[15:16], 3, v[15:16]
	v_mov_b32_e32 v34, s45
	v_add_co_u32_e32 v15, vcc, s44, v15
	v_addc_co_u32_e32 v16, vcc, v34, v16, vcc
	global_load_dwordx2 v[34:35], v[15:16], off
	ds_read_b64 v[36:37], v33 offset:4088
	s_waitcnt vmcnt(0) lgkmcnt(0)
	v_fma_f64 v[34:35], v[1:2], v[36:37], v[34:35]
	global_store_dwordx2 v[15:16], v[34:35], off
.LBB17_49:                              ;   in Loop: Header=BB17_43 Depth=1
	s_andn2_saveexec_b64 s[36:37], s[36:37]
	s_cbranch_execz .LBB17_51
; %bb.50:                               ;   in Loop: Header=BB17_43 Depth=1
	ds_read_b64 v[15:16], v33 offset:4088
	s_waitcnt lgkmcnt(0)
	v_add_f64 v[5:6], v[5:6], v[15:16]
.LBB17_51:                              ;   in Loop: Header=BB17_43 Depth=1
	s_or_b64 exec, exec, s[36:37]
.LBB17_52:                              ;   in Loop: Header=BB17_43 Depth=1
	s_or_b64 exec, exec, s[4:5]
	s_waitcnt vmcnt(0) lgkmcnt(0)
	s_barrier
	ds_write_b64 v17, v[3:4]
	ds_write_b64 v18, v[5:6]
	s_waitcnt lgkmcnt(0)
	s_barrier
	s_and_saveexec_b64 s[4:5], s[2:3]
	s_cbranch_execz .LBB17_56
; %bb.53:                               ;   in Loop: Header=BB17_43 Depth=1
	ds_read_b64 v[15:16], v19
	s_waitcnt lgkmcnt(0)
	v_cmp_eq_u64_e32 vcc, v[3:4], v[15:16]
	s_and_saveexec_b64 s[36:37], vcc
	s_cbranch_execz .LBB17_55
; %bb.54:                               ;   in Loop: Header=BB17_43 Depth=1
	v_add_u32_e32 v15, -8, v18
	ds_read_b64 v[15:16], v15
	s_waitcnt lgkmcnt(0)
	v_add_f64 v[5:6], v[5:6], v[15:16]
.LBB17_55:                              ;   in Loop: Header=BB17_43 Depth=1
	s_or_b64 exec, exec, s[36:37]
.LBB17_56:                              ;   in Loop: Header=BB17_43 Depth=1
	s_or_b64 exec, exec, s[4:5]
	s_barrier
	ds_write_b64 v18, v[5:6]
	s_waitcnt lgkmcnt(0)
	s_barrier
	s_and_saveexec_b64 s[4:5], s[22:23]
	s_cbranch_execz .LBB17_60
; %bb.57:                               ;   in Loop: Header=BB17_43 Depth=1
	ds_read_b64 v[15:16], v20
	s_waitcnt lgkmcnt(0)
	v_cmp_eq_u64_e32 vcc, v[3:4], v[15:16]
	s_and_saveexec_b64 s[36:37], vcc
	s_cbranch_execz .LBB17_59
; %bb.58:                               ;   in Loop: Header=BB17_43 Depth=1
	v_add_u32_e32 v15, -16, v18
	ds_read_b64 v[15:16], v15
	s_waitcnt lgkmcnt(0)
	v_add_f64 v[5:6], v[5:6], v[15:16]
.LBB17_59:                              ;   in Loop: Header=BB17_43 Depth=1
	s_or_b64 exec, exec, s[36:37]
.LBB17_60:                              ;   in Loop: Header=BB17_43 Depth=1
	s_or_b64 exec, exec, s[4:5]
	s_barrier
	ds_write_b64 v18, v[5:6]
	s_waitcnt lgkmcnt(0)
	s_barrier
	s_and_saveexec_b64 s[4:5], s[8:9]
	s_cbranch_execz .LBB17_64
; %bb.61:                               ;   in Loop: Header=BB17_43 Depth=1
	ds_read_b64 v[15:16], v21
	s_waitcnt lgkmcnt(0)
	v_cmp_eq_u64_e32 vcc, v[3:4], v[15:16]
	s_and_saveexec_b64 s[36:37], vcc
	s_cbranch_execz .LBB17_63
; %bb.62:                               ;   in Loop: Header=BB17_43 Depth=1
	ds_read_b64 v[15:16], v23
	s_waitcnt lgkmcnt(0)
	v_add_f64 v[5:6], v[5:6], v[15:16]
.LBB17_63:                              ;   in Loop: Header=BB17_43 Depth=1
	s_or_b64 exec, exec, s[36:37]
.LBB17_64:                              ;   in Loop: Header=BB17_43 Depth=1
	s_or_b64 exec, exec, s[4:5]
	s_barrier
	ds_write_b64 v18, v[5:6]
	s_waitcnt lgkmcnt(0)
	s_barrier
	s_and_saveexec_b64 s[4:5], s[10:11]
	s_cbranch_execz .LBB17_68
; %bb.65:                               ;   in Loop: Header=BB17_43 Depth=1
	ds_read_b64 v[15:16], v22
	s_waitcnt lgkmcnt(0)
	v_cmp_eq_u64_e32 vcc, v[3:4], v[15:16]
	s_and_saveexec_b64 s[36:37], vcc
	s_cbranch_execz .LBB17_67
; %bb.66:                               ;   in Loop: Header=BB17_43 Depth=1
	ds_read_b64 v[15:16], v24
	s_waitcnt lgkmcnt(0)
	v_add_f64 v[5:6], v[5:6], v[15:16]
.LBB17_67:                              ;   in Loop: Header=BB17_43 Depth=1
	s_or_b64 exec, exec, s[36:37]
.LBB17_68:                              ;   in Loop: Header=BB17_43 Depth=1
	;; [unrolled: 20-line block ×6, first 2 shown]
	s_or_b64 exec, exec, s[4:5]
	s_barrier
	ds_write_b64 v18, v[5:6]
	s_waitcnt lgkmcnt(0)
	s_barrier
	s_and_saveexec_b64 s[36:37], s[20:21]
	s_cbranch_execz .LBB17_42
; %bb.85:                               ;   in Loop: Header=BB17_43 Depth=1
	ds_read_b64 v[15:16], v17 offset:8
	v_cmp_lt_i64_e64 s[4:5], -1, v[3:4]
	s_waitcnt lgkmcnt(0)
	v_cmp_ne_u64_e32 vcc, v[3:4], v[15:16]
	s_and_b64 s[4:5], s[4:5], vcc
	s_and_b64 exec, exec, s[4:5]
	s_cbranch_execz .LBB17_42
; %bb.86:                               ;   in Loop: Header=BB17_43 Depth=1
	v_lshlrev_b64 v[15:16], 3, v[3:4]
	v_mov_b32_e32 v34, s45
	v_add_co_u32_e32 v15, vcc, s44, v15
	v_addc_co_u32_e32 v16, vcc, v34, v16, vcc
	global_load_dwordx2 v[34:35], v[15:16], off
	s_waitcnt vmcnt(0)
	v_fma_f64 v[34:35], v[1:2], v[5:6], v[34:35]
	global_store_dwordx2 v[15:16], v[34:35], off
	s_branch .LBB17_42
.LBB17_87:
	s_movk_i32 s0, 0xff
	v_cmp_eq_u32_e32 vcc, s0, v0
	s_and_b64 exec, exec, vcc
	s_cbranch_execz .LBB17_89
; %bb.88:
	v_mul_f64 v[0:1], v[1:2], v[5:6]
	s_lshl_b64 s[0:1], s[6:7], 3
	s_waitcnt lgkmcnt(0)
	s_add_u32 s2, s24, s0
	s_addc_u32 s3, s25, s1
	v_mov_b32_e32 v2, 0
	s_add_u32 s0, s26, s0
	s_addc_u32 s1, s27, s1
	global_store_dwordx2 v2, v[3:4], s[2:3] glc slc
	global_store_dwordx2 v2, v[0:1], s[0:1] glc slc
.LBB17_89:
	s_endpgm
	.section	.rodata,"a",@progbits
	.p2align	6, 0x0
	.amdhsa_kernel _ZN9rocsparseL22coomvn_segmented_loopsILj256ElddddEEvlT0_NS_24const_host_device_scalarIT4_EEPKS1_S6_PKT1_PKT2_PT3_PS1_PS3_21rocsparse_index_base_b
		.amdhsa_group_segment_fixed_size 4096
		.amdhsa_private_segment_fixed_size 0
		.amdhsa_kernarg_size 88
		.amdhsa_user_sgpr_count 6
		.amdhsa_user_sgpr_private_segment_buffer 1
		.amdhsa_user_sgpr_dispatch_ptr 0
		.amdhsa_user_sgpr_queue_ptr 0
		.amdhsa_user_sgpr_kernarg_segment_ptr 1
		.amdhsa_user_sgpr_dispatch_id 0
		.amdhsa_user_sgpr_flat_scratch_init 0
		.amdhsa_user_sgpr_private_segment_size 0
		.amdhsa_uses_dynamic_stack 0
		.amdhsa_system_sgpr_private_segment_wavefront_offset 0
		.amdhsa_system_sgpr_workgroup_id_x 1
		.amdhsa_system_sgpr_workgroup_id_y 0
		.amdhsa_system_sgpr_workgroup_id_z 0
		.amdhsa_system_sgpr_workgroup_info 0
		.amdhsa_system_vgpr_workitem_id 0
		.amdhsa_next_free_vgpr 38
		.amdhsa_next_free_sgpr 48
		.amdhsa_reserve_vcc 1
		.amdhsa_reserve_flat_scratch 0
		.amdhsa_float_round_mode_32 0
		.amdhsa_float_round_mode_16_64 0
		.amdhsa_float_denorm_mode_32 3
		.amdhsa_float_denorm_mode_16_64 3
		.amdhsa_dx10_clamp 1
		.amdhsa_ieee_mode 1
		.amdhsa_fp16_overflow 0
		.amdhsa_exception_fp_ieee_invalid_op 0
		.amdhsa_exception_fp_denorm_src 0
		.amdhsa_exception_fp_ieee_div_zero 0
		.amdhsa_exception_fp_ieee_overflow 0
		.amdhsa_exception_fp_ieee_underflow 0
		.amdhsa_exception_fp_ieee_inexact 0
		.amdhsa_exception_int_div_zero 0
	.end_amdhsa_kernel
	.section	.text._ZN9rocsparseL22coomvn_segmented_loopsILj256ElddddEEvlT0_NS_24const_host_device_scalarIT4_EEPKS1_S6_PKT1_PKT2_PT3_PS1_PS3_21rocsparse_index_base_b,"axG",@progbits,_ZN9rocsparseL22coomvn_segmented_loopsILj256ElddddEEvlT0_NS_24const_host_device_scalarIT4_EEPKS1_S6_PKT1_PKT2_PT3_PS1_PS3_21rocsparse_index_base_b,comdat
.Lfunc_end17:
	.size	_ZN9rocsparseL22coomvn_segmented_loopsILj256ElddddEEvlT0_NS_24const_host_device_scalarIT4_EEPKS1_S6_PKT1_PKT2_PT3_PS1_PS3_21rocsparse_index_base_b, .Lfunc_end17-_ZN9rocsparseL22coomvn_segmented_loopsILj256ElddddEEvlT0_NS_24const_host_device_scalarIT4_EEPKS1_S6_PKT1_PKT2_PT3_PS1_PS3_21rocsparse_index_base_b
                                        ; -- End function
	.set _ZN9rocsparseL22coomvn_segmented_loopsILj256ElddddEEvlT0_NS_24const_host_device_scalarIT4_EEPKS1_S6_PKT1_PKT2_PT3_PS1_PS3_21rocsparse_index_base_b.num_vgpr, 38
	.set _ZN9rocsparseL22coomvn_segmented_loopsILj256ElddddEEvlT0_NS_24const_host_device_scalarIT4_EEPKS1_S6_PKT1_PKT2_PT3_PS1_PS3_21rocsparse_index_base_b.num_agpr, 0
	.set _ZN9rocsparseL22coomvn_segmented_loopsILj256ElddddEEvlT0_NS_24const_host_device_scalarIT4_EEPKS1_S6_PKT1_PKT2_PT3_PS1_PS3_21rocsparse_index_base_b.numbered_sgpr, 48
	.set _ZN9rocsparseL22coomvn_segmented_loopsILj256ElddddEEvlT0_NS_24const_host_device_scalarIT4_EEPKS1_S6_PKT1_PKT2_PT3_PS1_PS3_21rocsparse_index_base_b.num_named_barrier, 0
	.set _ZN9rocsparseL22coomvn_segmented_loopsILj256ElddddEEvlT0_NS_24const_host_device_scalarIT4_EEPKS1_S6_PKT1_PKT2_PT3_PS1_PS3_21rocsparse_index_base_b.private_seg_size, 0
	.set _ZN9rocsparseL22coomvn_segmented_loopsILj256ElddddEEvlT0_NS_24const_host_device_scalarIT4_EEPKS1_S6_PKT1_PKT2_PT3_PS1_PS3_21rocsparse_index_base_b.uses_vcc, 1
	.set _ZN9rocsparseL22coomvn_segmented_loopsILj256ElddddEEvlT0_NS_24const_host_device_scalarIT4_EEPKS1_S6_PKT1_PKT2_PT3_PS1_PS3_21rocsparse_index_base_b.uses_flat_scratch, 0
	.set _ZN9rocsparseL22coomvn_segmented_loopsILj256ElddddEEvlT0_NS_24const_host_device_scalarIT4_EEPKS1_S6_PKT1_PKT2_PT3_PS1_PS3_21rocsparse_index_base_b.has_dyn_sized_stack, 0
	.set _ZN9rocsparseL22coomvn_segmented_loopsILj256ElddddEEvlT0_NS_24const_host_device_scalarIT4_EEPKS1_S6_PKT1_PKT2_PT3_PS1_PS3_21rocsparse_index_base_b.has_recursion, 0
	.set _ZN9rocsparseL22coomvn_segmented_loopsILj256ElddddEEvlT0_NS_24const_host_device_scalarIT4_EEPKS1_S6_PKT1_PKT2_PT3_PS1_PS3_21rocsparse_index_base_b.has_indirect_call, 0
	.section	.AMDGPU.csdata,"",@progbits
; Kernel info:
; codeLenInByte = 2668
; TotalNumSgprs: 52
; NumVgprs: 38
; ScratchSize: 0
; MemoryBound: 1
; FloatMode: 240
; IeeeMode: 1
; LDSByteSize: 4096 bytes/workgroup (compile time only)
; SGPRBlocks: 6
; VGPRBlocks: 9
; NumSGPRsForWavesPerEU: 52
; NumVGPRsForWavesPerEU: 38
; Occupancy: 6
; WaveLimiterHint : 1
; COMPUTE_PGM_RSRC2:SCRATCH_EN: 0
; COMPUTE_PGM_RSRC2:USER_SGPR: 6
; COMPUTE_PGM_RSRC2:TRAP_HANDLER: 0
; COMPUTE_PGM_RSRC2:TGID_X_EN: 1
; COMPUTE_PGM_RSRC2:TGID_Y_EN: 0
; COMPUTE_PGM_RSRC2:TGID_Z_EN: 0
; COMPUTE_PGM_RSRC2:TIDIG_COMP_CNT: 0
	.section	.text._ZN9rocsparseL29coomvn_segmented_loops_reduceILj256ElddEEvT0_NS_24const_host_device_scalarIT2_EEPKS1_PKS3_PT1_b,"axG",@progbits,_ZN9rocsparseL29coomvn_segmented_loops_reduceILj256ElddEEvT0_NS_24const_host_device_scalarIT2_EEPKS1_PKS3_PT1_b,comdat
	.globl	_ZN9rocsparseL29coomvn_segmented_loops_reduceILj256ElddEEvT0_NS_24const_host_device_scalarIT2_EEPKS1_PKS3_PT1_b ; -- Begin function _ZN9rocsparseL29coomvn_segmented_loops_reduceILj256ElddEEvT0_NS_24const_host_device_scalarIT2_EEPKS1_PKS3_PT1_b
	.p2align	8
	.type	_ZN9rocsparseL29coomvn_segmented_loops_reduceILj256ElddEEvT0_NS_24const_host_device_scalarIT2_EEPKS1_PKS3_PT1_b,@function
_ZN9rocsparseL29coomvn_segmented_loops_reduceILj256ElddEEvT0_NS_24const_host_device_scalarIT2_EEPKS1_PKS3_PT1_b: ; @_ZN9rocsparseL29coomvn_segmented_loops_reduceILj256ElddEEvT0_NS_24const_host_device_scalarIT2_EEPKS1_PKS3_PT1_b
; %bb.0:
	s_load_dword s0, s[4:5], 0x28
	s_load_dwordx4 s[8:11], s[4:5], 0x0
	s_waitcnt lgkmcnt(0)
	s_bitcmp1_b32 s0, 0
	s_cselect_b64 s[0:1], -1, 0
	v_mov_b32_e32 v1, s10
	s_and_b64 vcc, exec, s[0:1]
	v_mov_b32_e32 v2, s11
	s_cbranch_vccnz .LBB18_2
; %bb.1:
	v_mov_b32_e32 v1, s10
	v_mov_b32_e32 v2, s11
	flat_load_dwordx2 v[1:2], v[1:2]
.LBB18_2:
	s_waitcnt vmcnt(0) lgkmcnt(0)
	v_cmp_neq_f64_e32 vcc, 0, v[1:2]
	s_and_saveexec_b64 s[0:1], vcc
	s_cbranch_execz .LBB18_44
; %bb.3:
	v_cmp_lt_i64_e64 s[0:1], s[8:9], 1
	s_and_b64 vcc, exec, s[0:1]
	s_cbranch_vccnz .LBB18_44
; %bb.4:
	v_subrev_co_u32_e32 v1, vcc, 1, v0
	v_mov_b32_e32 v2, 0x800
	s_xor_b64 s[10:11], vcc, -1
	v_lshl_add_u32 v13, v1, 3, v2
	v_subrev_co_u32_e32 v1, vcc, 2, v0
	s_xor_b64 s[16:17], vcc, -1
	v_lshl_add_u32 v14, v1, 3, v2
	v_subrev_co_u32_e32 v1, vcc, 4, v0
	;; [unrolled: 3-line block ×3, first 2 shown]
	s_load_dwordx4 s[12:15], s[4:5], 0x10
	s_load_dwordx2 s[6:7], s[4:5], 0x20
	s_xor_b64 s[20:21], vcc, -1
	v_lshl_add_u32 v17, v1, 3, v2
	v_subrev_co_u32_e32 v1, vcc, 16, v0
	s_xor_b64 s[22:23], vcc, -1
	v_lshl_add_u32 v18, v1, 3, v2
	v_subrev_co_u32_e32 v1, vcc, 32, v0
	v_lshl_add_u32 v19, v1, 3, v2
	v_subrev_co_u32_e64 v1, s[0:1], 64, v0
	s_movk_i32 s2, 0x80
	v_lshlrev_b32_e32 v11, 3, v0
	v_lshl_add_u32 v20, v1, 3, v2
	v_subrev_co_u32_e64 v1, s[2:3], s2, v0
	v_lshl_add_u32 v21, v1, 3, v2
	s_waitcnt lgkmcnt(0)
	v_mov_b32_e32 v2, s15
	v_add_co_u32_e64 v1, s[4:5], s14, v11
	v_addc_co_u32_e64 v2, s[4:5], 0, v2, s[4:5]
	v_mov_b32_e32 v4, s13
	v_add_co_u32_e64 v3, s[4:5], s12, v11
	v_addc_co_u32_e64 v4, s[4:5], 0, v4, s[4:5]
	s_xor_b64 s[12:13], s[0:1], -1
	s_movk_i32 s0, 0xff
	v_or_b32_e32 v12, 0x800, v11
	v_subrev_u32_e32 v16, 64, v11
	v_add_u32_e32 v22, 0xffffff80, v11
	s_xor_b64 s[4:5], vcc, -1
	s_xor_b64 s[14:15], s[2:3], -1
	v_cmp_gt_u32_e64 s[0:1], s0, v0
	s_mov_b64 s[24:25], 0
	v_add_u32_e32 v23, 0xffffff00, v11
	v_add_u32_e32 v24, 0xfffffe00, v11
	;; [unrolled: 1-line block ×3, first 2 shown]
	s_branch .LBB18_6
.LBB18_5:                               ;   in Loop: Header=BB18_6 Depth=1
	s_or_b64 exec, exec, s[2:3]
	s_add_u32 s24, s24, 0x100
	v_add_co_u32_e32 v1, vcc, 0x800, v1
	v_mov_b32_e32 v5, s8
	s_addc_u32 s25, s25, 0
	v_addc_co_u32_e32 v2, vcc, 0, v2, vcc
	v_mov_b32_e32 v6, s9
	v_add_co_u32_e32 v3, vcc, 0x800, v3
	v_cmp_lt_i64_e64 s[2:3], s[24:25], v[5:6]
	v_addc_co_u32_e32 v4, vcc, 0, v4, vcc
	s_and_b64 vcc, exec, s[2:3]
	s_waitcnt vmcnt(0)
	s_barrier
	s_cbranch_vccz .LBB18_44
.LBB18_6:                               ; =>This Inner Loop Header: Depth=1
	v_mov_b32_e32 v6, s25
	v_add_co_u32_e32 v5, vcc, s24, v0
	v_addc_co_u32_e32 v6, vcc, 0, v6, vcc
	v_cmp_gt_i64_e32 vcc, s[8:9], v[5:6]
	v_mov_b32_e32 v5, 0
	v_mov_b32_e32 v7, -1
	v_mov_b32_e32 v9, 0
	v_mov_b32_e32 v6, 0
	v_mov_b32_e32 v8, -1
	v_mov_b32_e32 v10, 0
	s_and_saveexec_b64 s[2:3], vcc
	s_cbranch_execz .LBB18_8
; %bb.7:                                ;   in Loop: Header=BB18_6 Depth=1
	global_load_dwordx2 v[7:8], v[3:4], off
	global_load_dwordx2 v[9:10], v[1:2], off
.LBB18_8:                               ;   in Loop: Header=BB18_6 Depth=1
	s_or_b64 exec, exec, s[2:3]
	s_waitcnt vmcnt(1)
	ds_write_b64 v11, v[7:8]
	s_waitcnt vmcnt(0)
	ds_write_b64 v12, v[9:10]
	s_waitcnt lgkmcnt(0)
	s_barrier
	s_and_saveexec_b64 s[2:3], s[10:11]
	s_cbranch_execz .LBB18_12
; %bb.9:                                ;   in Loop: Header=BB18_6 Depth=1
	v_add_u32_e32 v5, -8, v11
	ds_read2_b64 v[5:8], v5 offset1:1
	s_waitcnt lgkmcnt(0)
	v_cmp_eq_u64_e32 vcc, v[7:8], v[5:6]
	v_mov_b32_e32 v5, 0
	v_mov_b32_e32 v6, 0
	s_and_saveexec_b64 s[26:27], vcc
; %bb.10:                               ;   in Loop: Header=BB18_6 Depth=1
	ds_read_b64 v[5:6], v13
; %bb.11:                               ;   in Loop: Header=BB18_6 Depth=1
	s_or_b64 exec, exec, s[26:27]
.LBB18_12:                              ;   in Loop: Header=BB18_6 Depth=1
	s_or_b64 exec, exec, s[2:3]
	s_waitcnt lgkmcnt(0)
	s_barrier
	ds_read_b64 v[7:8], v12
	s_waitcnt lgkmcnt(0)
	v_add_f64 v[9:10], v[5:6], v[7:8]
	v_mov_b32_e32 v5, 0
	v_mov_b32_e32 v7, 0
	;; [unrolled: 1-line block ×4, first 2 shown]
	ds_write_b64 v12, v[9:10]
	s_waitcnt lgkmcnt(0)
	s_barrier
	s_and_saveexec_b64 s[2:3], s[16:17]
	s_cbranch_execz .LBB18_16
; %bb.13:                               ;   in Loop: Header=BB18_6 Depth=1
	v_add_u32_e32 v9, -16, v11
	ds_read_b64 v[7:8], v11
	ds_read_b64 v[9:10], v9
	s_waitcnt lgkmcnt(0)
	v_cmp_eq_u64_e32 vcc, v[7:8], v[9:10]
	v_mov_b32_e32 v7, 0
	v_mov_b32_e32 v8, 0
	s_and_saveexec_b64 s[26:27], vcc
; %bb.14:                               ;   in Loop: Header=BB18_6 Depth=1
	ds_read_b64 v[7:8], v14
; %bb.15:                               ;   in Loop: Header=BB18_6 Depth=1
	s_or_b64 exec, exec, s[26:27]
.LBB18_16:                              ;   in Loop: Header=BB18_6 Depth=1
	s_or_b64 exec, exec, s[2:3]
	s_waitcnt lgkmcnt(0)
	s_barrier
	ds_read_b64 v[9:10], v12
	s_waitcnt lgkmcnt(0)
	v_add_f64 v[7:8], v[7:8], v[9:10]
	ds_write_b64 v12, v[7:8]
	s_waitcnt lgkmcnt(0)
	s_barrier
	s_and_saveexec_b64 s[2:3], s[18:19]
	s_cbranch_execz .LBB18_20
; %bb.17:                               ;   in Loop: Header=BB18_6 Depth=1
	v_subrev_u32_e32 v7, 32, v11
	ds_read_b64 v[5:6], v11
	ds_read_b64 v[7:8], v7
	s_waitcnt lgkmcnt(0)
	v_cmp_eq_u64_e32 vcc, v[5:6], v[7:8]
	v_mov_b32_e32 v5, 0
	v_mov_b32_e32 v6, 0
	s_and_saveexec_b64 s[26:27], vcc
; %bb.18:                               ;   in Loop: Header=BB18_6 Depth=1
	ds_read_b64 v[5:6], v15
; %bb.19:                               ;   in Loop: Header=BB18_6 Depth=1
	s_or_b64 exec, exec, s[26:27]
.LBB18_20:                              ;   in Loop: Header=BB18_6 Depth=1
	s_or_b64 exec, exec, s[2:3]
	s_waitcnt lgkmcnt(0)
	s_barrier
	ds_read_b64 v[7:8], v12
	s_waitcnt lgkmcnt(0)
	v_add_f64 v[9:10], v[5:6], v[7:8]
	v_mov_b32_e32 v5, 0
	v_mov_b32_e32 v7, 0
	;; [unrolled: 1-line block ×4, first 2 shown]
	ds_write_b64 v12, v[9:10]
	s_waitcnt lgkmcnt(0)
	s_barrier
	s_and_saveexec_b64 s[2:3], s[20:21]
	s_cbranch_execz .LBB18_24
; %bb.21:                               ;   in Loop: Header=BB18_6 Depth=1
	ds_read_b64 v[7:8], v11
	ds_read_b64 v[9:10], v16
	s_waitcnt lgkmcnt(0)
	v_cmp_eq_u64_e32 vcc, v[7:8], v[9:10]
	v_mov_b32_e32 v7, 0
	v_mov_b32_e32 v8, 0
	s_and_saveexec_b64 s[26:27], vcc
; %bb.22:                               ;   in Loop: Header=BB18_6 Depth=1
	ds_read_b64 v[7:8], v17
; %bb.23:                               ;   in Loop: Header=BB18_6 Depth=1
	s_or_b64 exec, exec, s[26:27]
.LBB18_24:                              ;   in Loop: Header=BB18_6 Depth=1
	s_or_b64 exec, exec, s[2:3]
	s_waitcnt lgkmcnt(0)
	s_barrier
	ds_read_b64 v[9:10], v12
	s_waitcnt lgkmcnt(0)
	v_add_f64 v[7:8], v[7:8], v[9:10]
	ds_write_b64 v12, v[7:8]
	s_waitcnt lgkmcnt(0)
	s_barrier
	s_and_saveexec_b64 s[2:3], s[22:23]
	s_cbranch_execz .LBB18_28
; %bb.25:                               ;   in Loop: Header=BB18_6 Depth=1
	ds_read_b64 v[5:6], v11
	ds_read_b64 v[7:8], v22
	s_waitcnt lgkmcnt(0)
	v_cmp_eq_u64_e32 vcc, v[5:6], v[7:8]
	v_mov_b32_e32 v5, 0
	v_mov_b32_e32 v6, 0
	s_and_saveexec_b64 s[26:27], vcc
; %bb.26:                               ;   in Loop: Header=BB18_6 Depth=1
	ds_read_b64 v[5:6], v18
; %bb.27:                               ;   in Loop: Header=BB18_6 Depth=1
	s_or_b64 exec, exec, s[26:27]
.LBB18_28:                              ;   in Loop: Header=BB18_6 Depth=1
	s_or_b64 exec, exec, s[2:3]
	s_waitcnt lgkmcnt(0)
	s_barrier
	ds_read_b64 v[7:8], v12
	s_waitcnt lgkmcnt(0)
	v_add_f64 v[9:10], v[5:6], v[7:8]
	v_mov_b32_e32 v5, 0
	v_mov_b32_e32 v7, 0
	;; [unrolled: 1-line block ×4, first 2 shown]
	ds_write_b64 v12, v[9:10]
	s_waitcnt lgkmcnt(0)
	s_barrier
	s_and_saveexec_b64 s[2:3], s[4:5]
	s_cbranch_execz .LBB18_32
; %bb.29:                               ;   in Loop: Header=BB18_6 Depth=1
	ds_read_b64 v[7:8], v11
	ds_read_b64 v[9:10], v23
	s_waitcnt lgkmcnt(0)
	v_cmp_eq_u64_e32 vcc, v[7:8], v[9:10]
	v_mov_b32_e32 v7, 0
	v_mov_b32_e32 v8, 0
	s_and_saveexec_b64 s[26:27], vcc
; %bb.30:                               ;   in Loop: Header=BB18_6 Depth=1
	ds_read_b64 v[7:8], v19
; %bb.31:                               ;   in Loop: Header=BB18_6 Depth=1
	s_or_b64 exec, exec, s[26:27]
.LBB18_32:                              ;   in Loop: Header=BB18_6 Depth=1
	s_or_b64 exec, exec, s[2:3]
	s_waitcnt lgkmcnt(0)
	s_barrier
	ds_read_b64 v[9:10], v12
	s_waitcnt lgkmcnt(0)
	v_add_f64 v[7:8], v[7:8], v[9:10]
	ds_write_b64 v12, v[7:8]
	s_waitcnt lgkmcnt(0)
	s_barrier
	s_and_saveexec_b64 s[2:3], s[12:13]
	s_cbranch_execz .LBB18_36
; %bb.33:                               ;   in Loop: Header=BB18_6 Depth=1
	ds_read_b64 v[5:6], v11
	ds_read_b64 v[7:8], v24
	s_waitcnt lgkmcnt(0)
	v_cmp_eq_u64_e32 vcc, v[5:6], v[7:8]
	v_mov_b32_e32 v5, 0
	v_mov_b32_e32 v6, 0
	s_and_saveexec_b64 s[26:27], vcc
; %bb.34:                               ;   in Loop: Header=BB18_6 Depth=1
	ds_read_b64 v[5:6], v20
; %bb.35:                               ;   in Loop: Header=BB18_6 Depth=1
	s_or_b64 exec, exec, s[26:27]
.LBB18_36:                              ;   in Loop: Header=BB18_6 Depth=1
	s_or_b64 exec, exec, s[2:3]
	s_waitcnt lgkmcnt(0)
	s_barrier
	ds_read_b64 v[7:8], v12
	s_waitcnt lgkmcnt(0)
	v_add_f64 v[7:8], v[5:6], v[7:8]
	v_mov_b32_e32 v5, 0
	v_mov_b32_e32 v6, 0
	ds_write_b64 v12, v[7:8]
	s_waitcnt lgkmcnt(0)
	s_barrier
	s_and_saveexec_b64 s[2:3], s[14:15]
	s_cbranch_execz .LBB18_40
; %bb.37:                               ;   in Loop: Header=BB18_6 Depth=1
	ds_read_b64 v[5:6], v11
	ds_read_b64 v[7:8], v25
	s_waitcnt lgkmcnt(0)
	v_cmp_eq_u64_e32 vcc, v[5:6], v[7:8]
	v_mov_b32_e32 v5, 0
	v_mov_b32_e32 v6, 0
	s_and_saveexec_b64 s[26:27], vcc
; %bb.38:                               ;   in Loop: Header=BB18_6 Depth=1
	ds_read_b64 v[5:6], v21
; %bb.39:                               ;   in Loop: Header=BB18_6 Depth=1
	s_or_b64 exec, exec, s[26:27]
.LBB18_40:                              ;   in Loop: Header=BB18_6 Depth=1
	s_or_b64 exec, exec, s[2:3]
	s_waitcnt lgkmcnt(0)
	s_barrier
	ds_read_b64 v[7:8], v12
	s_waitcnt lgkmcnt(0)
	v_add_f64 v[5:6], v[5:6], v[7:8]
	v_mov_b32_e32 v7, -1
	v_mov_b32_e32 v8, -1
	ds_write_b64 v12, v[5:6]
	s_waitcnt lgkmcnt(0)
	s_barrier
	ds_read_b64 v[5:6], v11
	s_and_saveexec_b64 s[2:3], s[0:1]
; %bb.41:                               ;   in Loop: Header=BB18_6 Depth=1
	ds_read_b64 v[7:8], v11 offset:8
; %bb.42:                               ;   in Loop: Header=BB18_6 Depth=1
	s_or_b64 exec, exec, s[2:3]
	s_waitcnt lgkmcnt(0)
	v_cmp_ne_u64_e32 vcc, v[5:6], v[7:8]
	v_cmp_lt_i64_e64 s[2:3], -1, v[5:6]
	s_and_b64 s[26:27], s[2:3], vcc
	s_and_saveexec_b64 s[2:3], s[26:27]
	s_cbranch_execz .LBB18_5
; %bb.43:                               ;   in Loop: Header=BB18_6 Depth=1
	v_lshlrev_b64 v[5:6], 3, v[5:6]
	v_mov_b32_e32 v7, s7
	v_add_co_u32_e32 v5, vcc, s6, v5
	v_addc_co_u32_e32 v6, vcc, v7, v6, vcc
	global_load_dwordx2 v[7:8], v[5:6], off
	ds_read_b64 v[9:10], v12
	s_waitcnt vmcnt(0) lgkmcnt(0)
	v_add_f64 v[7:8], v[7:8], v[9:10]
	global_store_dwordx2 v[5:6], v[7:8], off
	s_branch .LBB18_5
.LBB18_44:
	s_endpgm
	.section	.rodata,"a",@progbits
	.p2align	6, 0x0
	.amdhsa_kernel _ZN9rocsparseL29coomvn_segmented_loops_reduceILj256ElddEEvT0_NS_24const_host_device_scalarIT2_EEPKS1_PKS3_PT1_b
		.amdhsa_group_segment_fixed_size 4096
		.amdhsa_private_segment_fixed_size 0
		.amdhsa_kernarg_size 44
		.amdhsa_user_sgpr_count 6
		.amdhsa_user_sgpr_private_segment_buffer 1
		.amdhsa_user_sgpr_dispatch_ptr 0
		.amdhsa_user_sgpr_queue_ptr 0
		.amdhsa_user_sgpr_kernarg_segment_ptr 1
		.amdhsa_user_sgpr_dispatch_id 0
		.amdhsa_user_sgpr_flat_scratch_init 0
		.amdhsa_user_sgpr_private_segment_size 0
		.amdhsa_uses_dynamic_stack 0
		.amdhsa_system_sgpr_private_segment_wavefront_offset 0
		.amdhsa_system_sgpr_workgroup_id_x 1
		.amdhsa_system_sgpr_workgroup_id_y 0
		.amdhsa_system_sgpr_workgroup_id_z 0
		.amdhsa_system_sgpr_workgroup_info 0
		.amdhsa_system_vgpr_workitem_id 0
		.amdhsa_next_free_vgpr 26
		.amdhsa_next_free_sgpr 28
		.amdhsa_reserve_vcc 1
		.amdhsa_reserve_flat_scratch 0
		.amdhsa_float_round_mode_32 0
		.amdhsa_float_round_mode_16_64 0
		.amdhsa_float_denorm_mode_32 3
		.amdhsa_float_denorm_mode_16_64 3
		.amdhsa_dx10_clamp 1
		.amdhsa_ieee_mode 1
		.amdhsa_fp16_overflow 0
		.amdhsa_exception_fp_ieee_invalid_op 0
		.amdhsa_exception_fp_denorm_src 0
		.amdhsa_exception_fp_ieee_div_zero 0
		.amdhsa_exception_fp_ieee_overflow 0
		.amdhsa_exception_fp_ieee_underflow 0
		.amdhsa_exception_fp_ieee_inexact 0
		.amdhsa_exception_int_div_zero 0
	.end_amdhsa_kernel
	.section	.text._ZN9rocsparseL29coomvn_segmented_loops_reduceILj256ElddEEvT0_NS_24const_host_device_scalarIT2_EEPKS1_PKS3_PT1_b,"axG",@progbits,_ZN9rocsparseL29coomvn_segmented_loops_reduceILj256ElddEEvT0_NS_24const_host_device_scalarIT2_EEPKS1_PKS3_PT1_b,comdat
.Lfunc_end18:
	.size	_ZN9rocsparseL29coomvn_segmented_loops_reduceILj256ElddEEvT0_NS_24const_host_device_scalarIT2_EEPKS1_PKS3_PT1_b, .Lfunc_end18-_ZN9rocsparseL29coomvn_segmented_loops_reduceILj256ElddEEvT0_NS_24const_host_device_scalarIT2_EEPKS1_PKS3_PT1_b
                                        ; -- End function
	.set _ZN9rocsparseL29coomvn_segmented_loops_reduceILj256ElddEEvT0_NS_24const_host_device_scalarIT2_EEPKS1_PKS3_PT1_b.num_vgpr, 26
	.set _ZN9rocsparseL29coomvn_segmented_loops_reduceILj256ElddEEvT0_NS_24const_host_device_scalarIT2_EEPKS1_PKS3_PT1_b.num_agpr, 0
	.set _ZN9rocsparseL29coomvn_segmented_loops_reduceILj256ElddEEvT0_NS_24const_host_device_scalarIT2_EEPKS1_PKS3_PT1_b.numbered_sgpr, 28
	.set _ZN9rocsparseL29coomvn_segmented_loops_reduceILj256ElddEEvT0_NS_24const_host_device_scalarIT2_EEPKS1_PKS3_PT1_b.num_named_barrier, 0
	.set _ZN9rocsparseL29coomvn_segmented_loops_reduceILj256ElddEEvT0_NS_24const_host_device_scalarIT2_EEPKS1_PKS3_PT1_b.private_seg_size, 0
	.set _ZN9rocsparseL29coomvn_segmented_loops_reduceILj256ElddEEvT0_NS_24const_host_device_scalarIT2_EEPKS1_PKS3_PT1_b.uses_vcc, 1
	.set _ZN9rocsparseL29coomvn_segmented_loops_reduceILj256ElddEEvT0_NS_24const_host_device_scalarIT2_EEPKS1_PKS3_PT1_b.uses_flat_scratch, 0
	.set _ZN9rocsparseL29coomvn_segmented_loops_reduceILj256ElddEEvT0_NS_24const_host_device_scalarIT2_EEPKS1_PKS3_PT1_b.has_dyn_sized_stack, 0
	.set _ZN9rocsparseL29coomvn_segmented_loops_reduceILj256ElddEEvT0_NS_24const_host_device_scalarIT2_EEPKS1_PKS3_PT1_b.has_recursion, 0
	.set _ZN9rocsparseL29coomvn_segmented_loops_reduceILj256ElddEEvT0_NS_24const_host_device_scalarIT2_EEPKS1_PKS3_PT1_b.has_indirect_call, 0
	.section	.AMDGPU.csdata,"",@progbits
; Kernel info:
; codeLenInByte = 1556
; TotalNumSgprs: 32
; NumVgprs: 26
; ScratchSize: 0
; MemoryBound: 0
; FloatMode: 240
; IeeeMode: 1
; LDSByteSize: 4096 bytes/workgroup (compile time only)
; SGPRBlocks: 3
; VGPRBlocks: 6
; NumSGPRsForWavesPerEU: 32
; NumVGPRsForWavesPerEU: 26
; Occupancy: 9
; WaveLimiterHint : 0
; COMPUTE_PGM_RSRC2:SCRATCH_EN: 0
; COMPUTE_PGM_RSRC2:USER_SGPR: 6
; COMPUTE_PGM_RSRC2:TRAP_HANDLER: 0
; COMPUTE_PGM_RSRC2:TGID_X_EN: 1
; COMPUTE_PGM_RSRC2:TGID_Y_EN: 0
; COMPUTE_PGM_RSRC2:TGID_Z_EN: 0
; COMPUTE_PGM_RSRC2:TIDIG_COMP_CNT: 0
	.section	.text._ZN9rocsparseL13coomvt_kernelILj1024ElddddEEv20rocsparse_operation_lNS_24const_host_device_scalarIT4_EEPKT0_S7_PKT1_PKT2_PT3_21rocsparse_index_base_b,"axG",@progbits,_ZN9rocsparseL13coomvt_kernelILj1024ElddddEEv20rocsparse_operation_lNS_24const_host_device_scalarIT4_EEPKT0_S7_PKT1_PKT2_PT3_21rocsparse_index_base_b,comdat
	.globl	_ZN9rocsparseL13coomvt_kernelILj1024ElddddEEv20rocsparse_operation_lNS_24const_host_device_scalarIT4_EEPKT0_S7_PKT1_PKT2_PT3_21rocsparse_index_base_b ; -- Begin function _ZN9rocsparseL13coomvt_kernelILj1024ElddddEEv20rocsparse_operation_lNS_24const_host_device_scalarIT4_EEPKT0_S7_PKT1_PKT2_PT3_21rocsparse_index_base_b
	.p2align	8
	.type	_ZN9rocsparseL13coomvt_kernelILj1024ElddddEEv20rocsparse_operation_lNS_24const_host_device_scalarIT4_EEPKT0_S7_PKT1_PKT2_PT3_21rocsparse_index_base_b,@function
_ZN9rocsparseL13coomvt_kernelILj1024ElddddEEv20rocsparse_operation_lNS_24const_host_device_scalarIT4_EEPKT0_S7_PKT1_PKT2_PT3_21rocsparse_index_base_b: ; @_ZN9rocsparseL13coomvt_kernelILj1024ElddddEEv20rocsparse_operation_lNS_24const_host_device_scalarIT4_EEPKT0_S7_PKT1_PKT2_PT3_21rocsparse_index_base_b
; %bb.0:
	s_load_dwordx2 s[16:17], s[4:5], 0x40
	s_load_dwordx4 s[0:3], s[4:5], 0x8
	s_waitcnt lgkmcnt(0)
	s_bitcmp1_b32 s17, 0
	s_cselect_b64 s[8:9], -1, 0
	v_mov_b32_e32 v5, s3
	s_and_b64 vcc, exec, s[8:9]
	v_mov_b32_e32 v4, s2
	s_cbranch_vccnz .LBB19_2
; %bb.1:
	v_mov_b32_e32 v1, s2
	v_mov_b32_e32 v2, s3
	flat_load_dwordx2 v[4:5], v[1:2]
.LBB19_2:
	s_waitcnt vmcnt(0) lgkmcnt(0)
	v_cmp_neq_f64_e32 vcc, 0, v[4:5]
	s_and_saveexec_b64 s[2:3], vcc
	s_cbranch_execz .LBB19_6
; %bb.3:
	s_load_dword s2, s[4:5], 0x54
	v_mov_b32_e32 v1, 0
	s_waitcnt lgkmcnt(0)
	s_and_b32 s2, s2, 0xffff
	s_mul_i32 s6, s6, s2
	v_add_u32_e32 v0, s6, v0
	v_cmp_gt_i64_e32 vcc, s[0:1], v[0:1]
	s_and_b64 exec, exec, vcc
	s_cbranch_execz .LBB19_6
; %bb.4:
	s_load_dwordx8 s[8:15], s[4:5], 0x18
	v_lshlrev_b64 v[0:1], 3, v[0:1]
	s_load_dwordx2 s[0:1], s[4:5], 0x38
	s_waitcnt lgkmcnt(0)
	v_mov_b32_e32 v3, s9
	v_add_co_u32_e32 v2, vcc, s8, v0
	v_addc_co_u32_e32 v3, vcc, v3, v1, vcc
	global_load_dwordx2 v[2:3], v[2:3], off
	v_mov_b32_e32 v7, s11
	v_add_co_u32_e32 v6, vcc, s10, v0
	v_addc_co_u32_e32 v7, vcc, v7, v1, vcc
	global_load_dwordx2 v[6:7], v[6:7], off
	v_mov_b32_e32 v8, s13
	v_add_co_u32_e32 v0, vcc, s12, v0
	v_addc_co_u32_e32 v1, vcc, v8, v1, vcc
	global_load_dwordx2 v[0:1], v[0:1], off
	v_mov_b32_e32 v9, s15
	s_waitcnt vmcnt(2)
	v_subrev_co_u32_e32 v2, vcc, s16, v2
	v_subbrev_co_u32_e32 v3, vcc, 0, v3, vcc
	v_lshlrev_b64 v[2:3], 3, v[2:3]
	v_add_co_u32_e32 v2, vcc, s14, v2
	v_addc_co_u32_e32 v3, vcc, v9, v3, vcc
	global_load_dwordx2 v[8:9], v[2:3], off
	s_waitcnt vmcnt(2)
	v_subrev_co_u32_e32 v2, vcc, s16, v6
	v_subbrev_co_u32_e32 v3, vcc, 0, v7, vcc
	v_lshlrev_b64 v[2:3], 3, v[2:3]
	v_mov_b32_e32 v7, s1
	v_add_co_u32_e32 v6, vcc, s0, v2
	v_addc_co_u32_e32 v7, vcc, v7, v3, vcc
	global_load_dwordx2 v[2:3], v[6:7], off
	s_waitcnt vmcnt(2)
	v_mul_f64 v[0:1], v[4:5], v[0:1]
	s_mov_b64 s[0:1], 0
	s_waitcnt vmcnt(1)
	v_mul_f64 v[4:5], v[0:1], v[8:9]
.LBB19_5:                               ; =>This Inner Loop Header: Depth=1
	s_waitcnt vmcnt(0)
	v_add_f64 v[0:1], v[2:3], v[4:5]
	global_atomic_cmpswap_x2 v[0:1], v[6:7], v[0:3], off glc
	s_waitcnt vmcnt(0)
	v_cmp_eq_u64_e32 vcc, v[0:1], v[2:3]
	v_mov_b32_e32 v3, v1
	s_or_b64 s[0:1], vcc, s[0:1]
	v_mov_b32_e32 v2, v0
	s_andn2_b64 exec, exec, s[0:1]
	s_cbranch_execnz .LBB19_5
.LBB19_6:
	s_endpgm
	.section	.rodata,"a",@progbits
	.p2align	6, 0x0
	.amdhsa_kernel _ZN9rocsparseL13coomvt_kernelILj1024ElddddEEv20rocsparse_operation_lNS_24const_host_device_scalarIT4_EEPKT0_S7_PKT1_PKT2_PT3_21rocsparse_index_base_b
		.amdhsa_group_segment_fixed_size 0
		.amdhsa_private_segment_fixed_size 0
		.amdhsa_kernarg_size 328
		.amdhsa_user_sgpr_count 6
		.amdhsa_user_sgpr_private_segment_buffer 1
		.amdhsa_user_sgpr_dispatch_ptr 0
		.amdhsa_user_sgpr_queue_ptr 0
		.amdhsa_user_sgpr_kernarg_segment_ptr 1
		.amdhsa_user_sgpr_dispatch_id 0
		.amdhsa_user_sgpr_flat_scratch_init 0
		.amdhsa_user_sgpr_private_segment_size 0
		.amdhsa_uses_dynamic_stack 0
		.amdhsa_system_sgpr_private_segment_wavefront_offset 0
		.amdhsa_system_sgpr_workgroup_id_x 1
		.amdhsa_system_sgpr_workgroup_id_y 0
		.amdhsa_system_sgpr_workgroup_id_z 0
		.amdhsa_system_sgpr_workgroup_info 0
		.amdhsa_system_vgpr_workitem_id 0
		.amdhsa_next_free_vgpr 10
		.amdhsa_next_free_sgpr 18
		.amdhsa_reserve_vcc 1
		.amdhsa_reserve_flat_scratch 0
		.amdhsa_float_round_mode_32 0
		.amdhsa_float_round_mode_16_64 0
		.amdhsa_float_denorm_mode_32 3
		.amdhsa_float_denorm_mode_16_64 3
		.amdhsa_dx10_clamp 1
		.amdhsa_ieee_mode 1
		.amdhsa_fp16_overflow 0
		.amdhsa_exception_fp_ieee_invalid_op 0
		.amdhsa_exception_fp_denorm_src 0
		.amdhsa_exception_fp_ieee_div_zero 0
		.amdhsa_exception_fp_ieee_overflow 0
		.amdhsa_exception_fp_ieee_underflow 0
		.amdhsa_exception_fp_ieee_inexact 0
		.amdhsa_exception_int_div_zero 0
	.end_amdhsa_kernel
	.section	.text._ZN9rocsparseL13coomvt_kernelILj1024ElddddEEv20rocsparse_operation_lNS_24const_host_device_scalarIT4_EEPKT0_S7_PKT1_PKT2_PT3_21rocsparse_index_base_b,"axG",@progbits,_ZN9rocsparseL13coomvt_kernelILj1024ElddddEEv20rocsparse_operation_lNS_24const_host_device_scalarIT4_EEPKT0_S7_PKT1_PKT2_PT3_21rocsparse_index_base_b,comdat
.Lfunc_end19:
	.size	_ZN9rocsparseL13coomvt_kernelILj1024ElddddEEv20rocsparse_operation_lNS_24const_host_device_scalarIT4_EEPKT0_S7_PKT1_PKT2_PT3_21rocsparse_index_base_b, .Lfunc_end19-_ZN9rocsparseL13coomvt_kernelILj1024ElddddEEv20rocsparse_operation_lNS_24const_host_device_scalarIT4_EEPKT0_S7_PKT1_PKT2_PT3_21rocsparse_index_base_b
                                        ; -- End function
	.set _ZN9rocsparseL13coomvt_kernelILj1024ElddddEEv20rocsparse_operation_lNS_24const_host_device_scalarIT4_EEPKT0_S7_PKT1_PKT2_PT3_21rocsparse_index_base_b.num_vgpr, 10
	.set _ZN9rocsparseL13coomvt_kernelILj1024ElddddEEv20rocsparse_operation_lNS_24const_host_device_scalarIT4_EEPKT0_S7_PKT1_PKT2_PT3_21rocsparse_index_base_b.num_agpr, 0
	.set _ZN9rocsparseL13coomvt_kernelILj1024ElddddEEv20rocsparse_operation_lNS_24const_host_device_scalarIT4_EEPKT0_S7_PKT1_PKT2_PT3_21rocsparse_index_base_b.numbered_sgpr, 18
	.set _ZN9rocsparseL13coomvt_kernelILj1024ElddddEEv20rocsparse_operation_lNS_24const_host_device_scalarIT4_EEPKT0_S7_PKT1_PKT2_PT3_21rocsparse_index_base_b.num_named_barrier, 0
	.set _ZN9rocsparseL13coomvt_kernelILj1024ElddddEEv20rocsparse_operation_lNS_24const_host_device_scalarIT4_EEPKT0_S7_PKT1_PKT2_PT3_21rocsparse_index_base_b.private_seg_size, 0
	.set _ZN9rocsparseL13coomvt_kernelILj1024ElddddEEv20rocsparse_operation_lNS_24const_host_device_scalarIT4_EEPKT0_S7_PKT1_PKT2_PT3_21rocsparse_index_base_b.uses_vcc, 1
	.set _ZN9rocsparseL13coomvt_kernelILj1024ElddddEEv20rocsparse_operation_lNS_24const_host_device_scalarIT4_EEPKT0_S7_PKT1_PKT2_PT3_21rocsparse_index_base_b.uses_flat_scratch, 0
	.set _ZN9rocsparseL13coomvt_kernelILj1024ElddddEEv20rocsparse_operation_lNS_24const_host_device_scalarIT4_EEPKT0_S7_PKT1_PKT2_PT3_21rocsparse_index_base_b.has_dyn_sized_stack, 0
	.set _ZN9rocsparseL13coomvt_kernelILj1024ElddddEEv20rocsparse_operation_lNS_24const_host_device_scalarIT4_EEPKT0_S7_PKT1_PKT2_PT3_21rocsparse_index_base_b.has_recursion, 0
	.set _ZN9rocsparseL13coomvt_kernelILj1024ElddddEEv20rocsparse_operation_lNS_24const_host_device_scalarIT4_EEPKT0_S7_PKT1_PKT2_PT3_21rocsparse_index_base_b.has_indirect_call, 0
	.section	.AMDGPU.csdata,"",@progbits
; Kernel info:
; codeLenInByte = 368
; TotalNumSgprs: 22
; NumVgprs: 10
; ScratchSize: 0
; MemoryBound: 0
; FloatMode: 240
; IeeeMode: 1
; LDSByteSize: 0 bytes/workgroup (compile time only)
; SGPRBlocks: 2
; VGPRBlocks: 2
; NumSGPRsForWavesPerEU: 22
; NumVGPRsForWavesPerEU: 10
; Occupancy: 10
; WaveLimiterHint : 1
; COMPUTE_PGM_RSRC2:SCRATCH_EN: 0
; COMPUTE_PGM_RSRC2:USER_SGPR: 6
; COMPUTE_PGM_RSRC2:TRAP_HANDLER: 0
; COMPUTE_PGM_RSRC2:TGID_X_EN: 1
; COMPUTE_PGM_RSRC2:TGID_Y_EN: 0
; COMPUTE_PGM_RSRC2:TGID_Z_EN: 0
; COMPUTE_PGM_RSRC2:TIDIG_COMP_CNT: 0
	.section	.text._ZN9rocsparseL19coomvn_atomic_loopsILj256ELj1ElddddEEvlNS_24const_host_device_scalarIT5_EEPKT1_S6_PKT2_PKT3_PT4_21rocsparse_index_base_b,"axG",@progbits,_ZN9rocsparseL19coomvn_atomic_loopsILj256ELj1ElddddEEvlNS_24const_host_device_scalarIT5_EEPKT1_S6_PKT2_PKT3_PT4_21rocsparse_index_base_b,comdat
	.globl	_ZN9rocsparseL19coomvn_atomic_loopsILj256ELj1ElddddEEvlNS_24const_host_device_scalarIT5_EEPKT1_S6_PKT2_PKT3_PT4_21rocsparse_index_base_b ; -- Begin function _ZN9rocsparseL19coomvn_atomic_loopsILj256ELj1ElddddEEvlNS_24const_host_device_scalarIT5_EEPKT1_S6_PKT2_PKT3_PT4_21rocsparse_index_base_b
	.p2align	8
	.type	_ZN9rocsparseL19coomvn_atomic_loopsILj256ELj1ElddddEEvlNS_24const_host_device_scalarIT5_EEPKT1_S6_PKT2_PKT3_PT4_21rocsparse_index_base_b,@function
_ZN9rocsparseL19coomvn_atomic_loopsILj256ELj1ElddddEEvlNS_24const_host_device_scalarIT5_EEPKT1_S6_PKT2_PKT3_PT4_21rocsparse_index_base_b: ; @_ZN9rocsparseL19coomvn_atomic_loopsILj256ELj1ElddddEEvlNS_24const_host_device_scalarIT5_EEPKT1_S6_PKT2_PKT3_PT4_21rocsparse_index_base_b
; %bb.0:
	s_load_dwordx2 s[16:17], s[4:5], 0x38
	s_load_dwordx4 s[0:3], s[4:5], 0x0
	s_waitcnt lgkmcnt(0)
	s_bitcmp1_b32 s17, 0
	s_cselect_b64 s[8:9], -1, 0
	v_mov_b32_e32 v6, s3
	s_and_b64 vcc, exec, s[8:9]
	v_mov_b32_e32 v5, s2
	s_cbranch_vccnz .LBB20_2
; %bb.1:
	v_mov_b32_e32 v1, s2
	v_mov_b32_e32 v2, s3
	flat_load_dwordx2 v[5:6], v[1:2]
.LBB20_2:
	s_waitcnt vmcnt(0) lgkmcnt(0)
	v_cmp_neq_f64_e32 vcc, 0, v[5:6]
	s_and_saveexec_b64 s[2:3], vcc
	s_cbranch_execz .LBB20_44
; %bb.3:
	v_lshl_or_b32 v1, s6, 8, v0
	v_mov_b32_e32 v2, 0
	v_cmp_gt_i64_e32 vcc, s[0:1], v[1:2]
	v_mov_b32_e32 v9, -1
	v_mov_b32_e32 v7, 0
	v_mov_b32_e32 v10, -1
	v_mov_b32_e32 v8, 0
	s_and_saveexec_b64 s[0:1], vcc
	s_cbranch_execz .LBB20_5
; %bb.4:
	s_load_dwordx8 s[8:15], s[4:5], 0x10
	v_lshlrev_b64 v[1:2], 3, v[1:2]
	s_waitcnt lgkmcnt(0)
	v_mov_b32_e32 v4, s11
	v_add_co_u32_e32 v3, vcc, s10, v1
	v_addc_co_u32_e32 v4, vcc, v4, v2, vcc
	global_load_dwordx2 v[3:4], v[3:4], off glc slc
	v_mov_b32_e32 v8, s13
	v_add_co_u32_e32 v7, vcc, s12, v1
	v_addc_co_u32_e32 v8, vcc, v8, v2, vcc
	v_mov_b32_e32 v10, s15
	global_load_dwordx2 v[7:8], v[7:8], off glc slc
	v_mov_b32_e32 v9, s9
	s_waitcnt vmcnt(1)
	v_subrev_co_u32_e32 v3, vcc, s16, v3
	v_subbrev_co_u32_e32 v4, vcc, 0, v4, vcc
	v_lshlrev_b64 v[3:4], 3, v[3:4]
	v_add_co_u32_e32 v3, vcc, s14, v3
	v_addc_co_u32_e32 v4, vcc, v10, v4, vcc
	global_load_dwordx2 v[3:4], v[3:4], off
	v_add_co_u32_e32 v1, vcc, s8, v1
	v_addc_co_u32_e32 v2, vcc, v9, v2, vcc
	global_load_dwordx2 v[1:2], v[1:2], off glc slc
	s_waitcnt vmcnt(1)
	v_mul_f64 v[7:8], v[7:8], v[3:4]
	s_waitcnt vmcnt(0)
	v_subrev_co_u32_e32 v9, vcc, s16, v1
	v_subbrev_co_u32_e32 v10, vcc, 0, v2, vcc
.LBB20_5:
	s_or_b64 exec, exec, s[0:1]
	v_lshlrev_b32_e32 v1, 3, v0
	v_or_b32_e32 v2, 0x800, v1
	v_cmp_ne_u32_e32 vcc, 0, v0
	ds_write2st64_b64 v1, v[9:10], v[7:8] offset1:4
	s_waitcnt lgkmcnt(0)
	s_barrier
	s_and_saveexec_b64 s[0:1], vcc
	s_cbranch_execz .LBB20_9
; %bb.6:
	v_add_u32_e32 v3, -8, v1
	ds_read_b64 v[3:4], v3
	s_waitcnt lgkmcnt(0)
	v_cmp_eq_u64_e32 vcc, v[9:10], v[3:4]
	s_and_saveexec_b64 s[2:3], vcc
	s_cbranch_execz .LBB20_8
; %bb.7:
	v_add_u32_e32 v3, -8, v2
	ds_read_b64 v[3:4], v3
	s_waitcnt lgkmcnt(0)
	v_add_f64 v[7:8], v[7:8], v[3:4]
.LBB20_8:
	s_or_b64 exec, exec, s[2:3]
.LBB20_9:
	s_or_b64 exec, exec, s[0:1]
	v_cmp_lt_u32_e32 vcc, 1, v0
	s_barrier
	ds_write_b64 v2, v[7:8]
	s_waitcnt lgkmcnt(0)
	s_barrier
	s_and_saveexec_b64 s[0:1], vcc
	s_cbranch_execz .LBB20_13
; %bb.10:
	v_add_u32_e32 v3, -16, v1
	ds_read_b64 v[3:4], v3
	s_waitcnt lgkmcnt(0)
	v_cmp_eq_u64_e32 vcc, v[9:10], v[3:4]
	s_and_saveexec_b64 s[2:3], vcc
	s_cbranch_execz .LBB20_12
; %bb.11:
	v_add_u32_e32 v3, -16, v2
	ds_read_b64 v[3:4], v3
	s_waitcnt lgkmcnt(0)
	v_add_f64 v[7:8], v[7:8], v[3:4]
.LBB20_12:
	s_or_b64 exec, exec, s[2:3]
.LBB20_13:
	s_or_b64 exec, exec, s[0:1]
	v_cmp_lt_u32_e32 vcc, 3, v0
	s_barrier
	ds_write_b64 v2, v[7:8]
	s_waitcnt lgkmcnt(0)
	s_barrier
	s_and_saveexec_b64 s[0:1], vcc
	s_cbranch_execz .LBB20_17
; %bb.14:
	v_subrev_u32_e32 v3, 32, v1
	ds_read_b64 v[3:4], v3
	s_waitcnt lgkmcnt(0)
	v_cmp_eq_u64_e32 vcc, v[9:10], v[3:4]
	s_and_saveexec_b64 s[2:3], vcc
	s_cbranch_execz .LBB20_16
; %bb.15:
	v_subrev_u32_e32 v3, 32, v2
	ds_read_b64 v[3:4], v3
	s_waitcnt lgkmcnt(0)
	v_add_f64 v[7:8], v[7:8], v[3:4]
.LBB20_16:
	s_or_b64 exec, exec, s[2:3]
.LBB20_17:
	s_or_b64 exec, exec, s[0:1]
	v_cmp_lt_u32_e32 vcc, 7, v0
	s_barrier
	ds_write_b64 v2, v[7:8]
	s_waitcnt lgkmcnt(0)
	s_barrier
	s_and_saveexec_b64 s[0:1], vcc
	s_cbranch_execz .LBB20_21
; %bb.18:
	v_subrev_u32_e32 v3, 64, v1
	ds_read_b64 v[3:4], v3
	s_waitcnt lgkmcnt(0)
	v_cmp_eq_u64_e32 vcc, v[9:10], v[3:4]
	s_and_saveexec_b64 s[2:3], vcc
	s_cbranch_execz .LBB20_20
; %bb.19:
	v_subrev_u32_e32 v3, 64, v2
	ds_read_b64 v[3:4], v3
	s_waitcnt lgkmcnt(0)
	v_add_f64 v[7:8], v[7:8], v[3:4]
.LBB20_20:
	s_or_b64 exec, exec, s[2:3]
.LBB20_21:
	s_or_b64 exec, exec, s[0:1]
	v_cmp_lt_u32_e32 vcc, 15, v0
	s_barrier
	ds_write_b64 v2, v[7:8]
	s_waitcnt lgkmcnt(0)
	s_barrier
	s_and_saveexec_b64 s[0:1], vcc
	s_cbranch_execz .LBB20_25
; %bb.22:
	v_add_u32_e32 v3, 0xffffff80, v1
	ds_read_b64 v[3:4], v3
	s_waitcnt lgkmcnt(0)
	v_cmp_eq_u64_e32 vcc, v[9:10], v[3:4]
	s_and_saveexec_b64 s[2:3], vcc
	s_cbranch_execz .LBB20_24
; %bb.23:
	v_add_u32_e32 v3, 0xffffff80, v2
	ds_read_b64 v[3:4], v3
	s_waitcnt lgkmcnt(0)
	v_add_f64 v[7:8], v[7:8], v[3:4]
.LBB20_24:
	s_or_b64 exec, exec, s[2:3]
.LBB20_25:
	s_or_b64 exec, exec, s[0:1]
	v_cmp_lt_u32_e32 vcc, 31, v0
	s_barrier
	ds_write_b64 v2, v[7:8]
	s_waitcnt lgkmcnt(0)
	s_barrier
	s_and_saveexec_b64 s[0:1], vcc
	s_cbranch_execz .LBB20_29
; %bb.26:
	v_add_u32_e32 v3, 0xffffff00, v1
	ds_read_b64 v[3:4], v3
	s_waitcnt lgkmcnt(0)
	v_cmp_eq_u64_e32 vcc, v[9:10], v[3:4]
	s_and_saveexec_b64 s[2:3], vcc
	s_cbranch_execz .LBB20_28
; %bb.27:
	v_add_u32_e32 v3, 0xffffff00, v2
	ds_read_b64 v[3:4], v3
	s_waitcnt lgkmcnt(0)
	v_add_f64 v[7:8], v[7:8], v[3:4]
.LBB20_28:
	s_or_b64 exec, exec, s[2:3]
.LBB20_29:
	;; [unrolled: 23-line block ×3, first 2 shown]
	s_or_b64 exec, exec, s[0:1]
	s_load_dwordx2 s[2:3], s[4:5], 0x30
	s_movk_i32 s0, 0x7f
	v_cmp_lt_u32_e32 vcc, s0, v0
	s_waitcnt lgkmcnt(0)
	s_barrier
	ds_write_b64 v2, v[7:8]
	s_waitcnt lgkmcnt(0)
	s_barrier
	s_and_saveexec_b64 s[0:1], vcc
	s_cbranch_execz .LBB20_37
; %bb.34:
	v_add_u32_e32 v3, 0xfffffc00, v1
	ds_read_b64 v[3:4], v3
	s_waitcnt lgkmcnt(0)
	v_cmp_eq_u64_e32 vcc, v[9:10], v[3:4]
	s_and_saveexec_b64 s[4:5], vcc
	s_cbranch_execz .LBB20_36
; %bb.35:
	v_add_u32_e32 v3, 0xfffffc00, v2
	ds_read_b64 v[3:4], v3
	s_waitcnt lgkmcnt(0)
	v_add_f64 v[7:8], v[7:8], v[3:4]
.LBB20_36:
	s_or_b64 exec, exec, s[4:5]
.LBB20_37:
	s_or_b64 exec, exec, s[0:1]
	s_movk_i32 s6, 0xff
	v_cmp_gt_u32_e32 vcc, s6, v0
	s_barrier
	ds_write_b64 v2, v[7:8]
	s_waitcnt lgkmcnt(0)
	s_barrier
	s_and_saveexec_b64 s[4:5], vcc
	s_cbranch_execz .LBB20_41
; %bb.38:
	ds_read_b64 v[1:2], v1 offset:8
	v_cmp_lt_i64_e64 s[0:1], -1, v[9:10]
	s_waitcnt lgkmcnt(0)
	v_cmp_ne_u64_e32 vcc, v[9:10], v[1:2]
	s_and_b64 s[0:1], s[0:1], vcc
	s_and_b64 exec, exec, s[0:1]
	s_cbranch_execz .LBB20_41
; %bb.39:
	v_lshlrev_b64 v[1:2], 3, v[9:10]
	v_mov_b32_e32 v3, s3
	v_add_co_u32_e32 v11, vcc, s2, v1
	v_addc_co_u32_e32 v12, vcc, v3, v2, vcc
	global_load_dwordx2 v[3:4], v[11:12], off
	v_mul_f64 v[13:14], v[5:6], v[7:8]
	s_mov_b64 s[0:1], 0
.LBB20_40:                              ; =>This Inner Loop Header: Depth=1
	s_waitcnt vmcnt(0)
	v_add_f64 v[1:2], v[3:4], v[13:14]
	global_atomic_cmpswap_x2 v[1:2], v[11:12], v[1:4], off glc
	s_waitcnt vmcnt(0)
	v_cmp_eq_u64_e32 vcc, v[1:2], v[3:4]
	v_mov_b32_e32 v4, v2
	s_or_b64 s[0:1], vcc, s[0:1]
	v_mov_b32_e32 v3, v1
	s_andn2_b64 exec, exec, s[0:1]
	s_cbranch_execnz .LBB20_40
.LBB20_41:
	s_or_b64 exec, exec, s[4:5]
	v_cmp_lt_i64_e32 vcc, -1, v[9:10]
	v_cmp_eq_u32_e64 s[0:1], s6, v0
	s_and_b64 s[0:1], s[0:1], vcc
	s_and_b64 exec, exec, s[0:1]
	s_cbranch_execz .LBB20_44
; %bb.42:
	v_lshlrev_b64 v[0:1], 3, v[9:10]
	v_mov_b32_e32 v2, s3
	v_add_co_u32_e32 v9, vcc, s2, v0
	v_addc_co_u32_e32 v10, vcc, v2, v1, vcc
	global_load_dwordx2 v[2:3], v[9:10], off
	v_mul_f64 v[4:5], v[5:6], v[7:8]
	s_mov_b64 s[0:1], 0
.LBB20_43:                              ; =>This Inner Loop Header: Depth=1
	s_waitcnt vmcnt(0)
	v_add_f64 v[0:1], v[2:3], v[4:5]
	global_atomic_cmpswap_x2 v[0:1], v[9:10], v[0:3], off glc
	s_waitcnt vmcnt(0)
	v_cmp_eq_u64_e32 vcc, v[0:1], v[2:3]
	v_mov_b32_e32 v3, v1
	s_or_b64 s[0:1], vcc, s[0:1]
	v_mov_b32_e32 v2, v0
	s_andn2_b64 exec, exec, s[0:1]
	s_cbranch_execnz .LBB20_43
.LBB20_44:
	s_endpgm
	.section	.rodata,"a",@progbits
	.p2align	6, 0x0
	.amdhsa_kernel _ZN9rocsparseL19coomvn_atomic_loopsILj256ELj1ElddddEEvlNS_24const_host_device_scalarIT5_EEPKT1_S6_PKT2_PKT3_PT4_21rocsparse_index_base_b
		.amdhsa_group_segment_fixed_size 4096
		.amdhsa_private_segment_fixed_size 0
		.amdhsa_kernarg_size 64
		.amdhsa_user_sgpr_count 6
		.amdhsa_user_sgpr_private_segment_buffer 1
		.amdhsa_user_sgpr_dispatch_ptr 0
		.amdhsa_user_sgpr_queue_ptr 0
		.amdhsa_user_sgpr_kernarg_segment_ptr 1
		.amdhsa_user_sgpr_dispatch_id 0
		.amdhsa_user_sgpr_flat_scratch_init 0
		.amdhsa_user_sgpr_private_segment_size 0
		.amdhsa_uses_dynamic_stack 0
		.amdhsa_system_sgpr_private_segment_wavefront_offset 0
		.amdhsa_system_sgpr_workgroup_id_x 1
		.amdhsa_system_sgpr_workgroup_id_y 0
		.amdhsa_system_sgpr_workgroup_id_z 0
		.amdhsa_system_sgpr_workgroup_info 0
		.amdhsa_system_vgpr_workitem_id 0
		.amdhsa_next_free_vgpr 15
		.amdhsa_next_free_sgpr 18
		.amdhsa_reserve_vcc 1
		.amdhsa_reserve_flat_scratch 0
		.amdhsa_float_round_mode_32 0
		.amdhsa_float_round_mode_16_64 0
		.amdhsa_float_denorm_mode_32 3
		.amdhsa_float_denorm_mode_16_64 3
		.amdhsa_dx10_clamp 1
		.amdhsa_ieee_mode 1
		.amdhsa_fp16_overflow 0
		.amdhsa_exception_fp_ieee_invalid_op 0
		.amdhsa_exception_fp_denorm_src 0
		.amdhsa_exception_fp_ieee_div_zero 0
		.amdhsa_exception_fp_ieee_overflow 0
		.amdhsa_exception_fp_ieee_underflow 0
		.amdhsa_exception_fp_ieee_inexact 0
		.amdhsa_exception_int_div_zero 0
	.end_amdhsa_kernel
	.section	.text._ZN9rocsparseL19coomvn_atomic_loopsILj256ELj1ElddddEEvlNS_24const_host_device_scalarIT5_EEPKT1_S6_PKT2_PKT3_PT4_21rocsparse_index_base_b,"axG",@progbits,_ZN9rocsparseL19coomvn_atomic_loopsILj256ELj1ElddddEEvlNS_24const_host_device_scalarIT5_EEPKT1_S6_PKT2_PKT3_PT4_21rocsparse_index_base_b,comdat
.Lfunc_end20:
	.size	_ZN9rocsparseL19coomvn_atomic_loopsILj256ELj1ElddddEEvlNS_24const_host_device_scalarIT5_EEPKT1_S6_PKT2_PKT3_PT4_21rocsparse_index_base_b, .Lfunc_end20-_ZN9rocsparseL19coomvn_atomic_loopsILj256ELj1ElddddEEvlNS_24const_host_device_scalarIT5_EEPKT1_S6_PKT2_PKT3_PT4_21rocsparse_index_base_b
                                        ; -- End function
	.set _ZN9rocsparseL19coomvn_atomic_loopsILj256ELj1ElddddEEvlNS_24const_host_device_scalarIT5_EEPKT1_S6_PKT2_PKT3_PT4_21rocsparse_index_base_b.num_vgpr, 15
	.set _ZN9rocsparseL19coomvn_atomic_loopsILj256ELj1ElddddEEvlNS_24const_host_device_scalarIT5_EEPKT1_S6_PKT2_PKT3_PT4_21rocsparse_index_base_b.num_agpr, 0
	.set _ZN9rocsparseL19coomvn_atomic_loopsILj256ELj1ElddddEEvlNS_24const_host_device_scalarIT5_EEPKT1_S6_PKT2_PKT3_PT4_21rocsparse_index_base_b.numbered_sgpr, 18
	.set _ZN9rocsparseL19coomvn_atomic_loopsILj256ELj1ElddddEEvlNS_24const_host_device_scalarIT5_EEPKT1_S6_PKT2_PKT3_PT4_21rocsparse_index_base_b.num_named_barrier, 0
	.set _ZN9rocsparseL19coomvn_atomic_loopsILj256ELj1ElddddEEvlNS_24const_host_device_scalarIT5_EEPKT1_S6_PKT2_PKT3_PT4_21rocsparse_index_base_b.private_seg_size, 0
	.set _ZN9rocsparseL19coomvn_atomic_loopsILj256ELj1ElddddEEvlNS_24const_host_device_scalarIT5_EEPKT1_S6_PKT2_PKT3_PT4_21rocsparse_index_base_b.uses_vcc, 1
	.set _ZN9rocsparseL19coomvn_atomic_loopsILj256ELj1ElddddEEvlNS_24const_host_device_scalarIT5_EEPKT1_S6_PKT2_PKT3_PT4_21rocsparse_index_base_b.uses_flat_scratch, 0
	.set _ZN9rocsparseL19coomvn_atomic_loopsILj256ELj1ElddddEEvlNS_24const_host_device_scalarIT5_EEPKT1_S6_PKT2_PKT3_PT4_21rocsparse_index_base_b.has_dyn_sized_stack, 0
	.set _ZN9rocsparseL19coomvn_atomic_loopsILj256ELj1ElddddEEvlNS_24const_host_device_scalarIT5_EEPKT1_S6_PKT2_PKT3_PT4_21rocsparse_index_base_b.has_recursion, 0
	.set _ZN9rocsparseL19coomvn_atomic_loopsILj256ELj1ElddddEEvlNS_24const_host_device_scalarIT5_EEPKT1_S6_PKT2_PKT3_PT4_21rocsparse_index_base_b.has_indirect_call, 0
	.section	.AMDGPU.csdata,"",@progbits
; Kernel info:
; codeLenInByte = 1336
; TotalNumSgprs: 22
; NumVgprs: 15
; ScratchSize: 0
; MemoryBound: 1
; FloatMode: 240
; IeeeMode: 1
; LDSByteSize: 4096 bytes/workgroup (compile time only)
; SGPRBlocks: 2
; VGPRBlocks: 3
; NumSGPRsForWavesPerEU: 22
; NumVGPRsForWavesPerEU: 15
; Occupancy: 10
; WaveLimiterHint : 1
; COMPUTE_PGM_RSRC2:SCRATCH_EN: 0
; COMPUTE_PGM_RSRC2:USER_SGPR: 6
; COMPUTE_PGM_RSRC2:TRAP_HANDLER: 0
; COMPUTE_PGM_RSRC2:TGID_X_EN: 1
; COMPUTE_PGM_RSRC2:TGID_Y_EN: 0
; COMPUTE_PGM_RSRC2:TGID_Z_EN: 0
; COMPUTE_PGM_RSRC2:TIDIG_COMP_CNT: 0
	.section	.text._ZN9rocsparseL19coomvn_atomic_loopsILj256ELj2ElddddEEvlNS_24const_host_device_scalarIT5_EEPKT1_S6_PKT2_PKT3_PT4_21rocsparse_index_base_b,"axG",@progbits,_ZN9rocsparseL19coomvn_atomic_loopsILj256ELj2ElddddEEvlNS_24const_host_device_scalarIT5_EEPKT1_S6_PKT2_PKT3_PT4_21rocsparse_index_base_b,comdat
	.globl	_ZN9rocsparseL19coomvn_atomic_loopsILj256ELj2ElddddEEvlNS_24const_host_device_scalarIT5_EEPKT1_S6_PKT2_PKT3_PT4_21rocsparse_index_base_b ; -- Begin function _ZN9rocsparseL19coomvn_atomic_loopsILj256ELj2ElddddEEvlNS_24const_host_device_scalarIT5_EEPKT1_S6_PKT2_PKT3_PT4_21rocsparse_index_base_b
	.p2align	8
	.type	_ZN9rocsparseL19coomvn_atomic_loopsILj256ELj2ElddddEEvlNS_24const_host_device_scalarIT5_EEPKT1_S6_PKT2_PKT3_PT4_21rocsparse_index_base_b,@function
_ZN9rocsparseL19coomvn_atomic_loopsILj256ELj2ElddddEEvlNS_24const_host_device_scalarIT5_EEPKT1_S6_PKT2_PKT3_PT4_21rocsparse_index_base_b: ; @_ZN9rocsparseL19coomvn_atomic_loopsILj256ELj2ElddddEEvlNS_24const_host_device_scalarIT5_EEPKT1_S6_PKT2_PKT3_PT4_21rocsparse_index_base_b
; %bb.0:
	s_load_dwordx2 s[34:35], s[4:5], 0x38
	s_load_dwordx4 s[36:39], s[4:5], 0x0
	s_waitcnt lgkmcnt(0)
	s_bitcmp1_b32 s35, 0
	s_cselect_b64 s[0:1], -1, 0
	v_mov_b32_e32 v5, s38
	s_and_b64 vcc, exec, s[0:1]
	v_mov_b32_e32 v6, s39
	s_cbranch_vccnz .LBB21_2
; %bb.1:
	v_mov_b32_e32 v1, s38
	v_mov_b32_e32 v2, s39
	flat_load_dwordx2 v[5:6], v[1:2]
.LBB21_2:
	s_waitcnt vmcnt(0) lgkmcnt(0)
	v_cmp_neq_f64_e32 vcc, 0, v[5:6]
	s_and_saveexec_b64 s[0:1], vcc
	s_cbranch_execz .LBB21_95
; %bb.3:
	s_load_dwordx8 s[24:31], s[4:5], 0x10
	v_lshl_or_b32 v7, s6, 9, v0
	v_mov_b32_e32 v8, 0
	v_cmp_gt_i64_e32 vcc, s[36:37], v[7:8]
	v_mov_b32_e32 v3, -1
	v_mov_b32_e32 v1, 0
	v_lshlrev_b64 v[11:12], 3, v[7:8]
	v_mov_b32_e32 v4, -1
	v_mov_b32_e32 v2, 0
	s_and_saveexec_b64 s[0:1], vcc
	s_cbranch_execz .LBB21_5
; %bb.4:
	s_waitcnt lgkmcnt(0)
	v_mov_b32_e32 v2, s27
	v_add_co_u32_e32 v1, vcc, s26, v11
	v_addc_co_u32_e32 v2, vcc, v2, v12, vcc
	global_load_dwordx2 v[1:2], v[1:2], off glc slc
	v_mov_b32_e32 v4, s29
	v_add_co_u32_e32 v3, vcc, s28, v11
	v_addc_co_u32_e32 v4, vcc, v4, v12, vcc
	v_mov_b32_e32 v8, s31
	global_load_dwordx2 v[3:4], v[3:4], off glc slc
	v_mov_b32_e32 v9, s25
	s_waitcnt vmcnt(1)
	v_subrev_co_u32_e32 v1, vcc, s34, v1
	v_subbrev_co_u32_e32 v2, vcc, 0, v2, vcc
	v_lshlrev_b64 v[1:2], 3, v[1:2]
	v_add_co_u32_e32 v1, vcc, s30, v1
	v_addc_co_u32_e32 v2, vcc, v8, v2, vcc
	global_load_dwordx2 v[1:2], v[1:2], off
	v_add_co_u32_e32 v8, vcc, s24, v11
	v_addc_co_u32_e32 v9, vcc, v9, v12, vcc
	global_load_dwordx2 v[8:9], v[8:9], off glc slc
	s_waitcnt vmcnt(1)
	v_mul_f64 v[1:2], v[3:4], v[1:2]
	s_waitcnt vmcnt(0)
	v_subrev_co_u32_e32 v3, vcc, s34, v8
	v_subbrev_co_u32_e32 v4, vcc, 0, v9, vcc
.LBB21_5:
	s_or_b64 exec, exec, s[0:1]
	v_lshlrev_b32_e32 v15, 3, v0
	v_or_b32_e32 v16, 0x800, v15
	v_cmp_eq_u32_e64 s[18:19], 0, v0
	v_cmp_ne_u32_e64 s[0:1], 0, v0
	v_add_u32_e32 v17, -8, v15
	ds_write2st64_b64 v15, v[3:4], v[1:2] offset1:4
	s_waitcnt lgkmcnt(0)
	s_barrier
	s_and_saveexec_b64 s[2:3], s[0:1]
	s_cbranch_execz .LBB21_9
; %bb.6:
	ds_read_b64 v[8:9], v17
	s_waitcnt lgkmcnt(0)
	v_cmp_eq_u64_e32 vcc, v[3:4], v[8:9]
	s_and_saveexec_b64 s[6:7], vcc
	s_cbranch_execz .LBB21_8
; %bb.7:
	v_add_u32_e32 v8, -8, v16
	ds_read_b64 v[8:9], v8
	s_waitcnt lgkmcnt(0)
	v_add_f64 v[1:2], v[1:2], v[8:9]
.LBB21_8:
	s_or_b64 exec, exec, s[6:7]
.LBB21_9:
	s_or_b64 exec, exec, s[2:3]
	v_cmp_lt_u32_e64 s[2:3], 1, v0
	v_add_u32_e32 v18, -16, v15
	s_barrier
	ds_write_b64 v16, v[1:2]
	s_waitcnt lgkmcnt(0)
	s_barrier
	s_and_saveexec_b64 s[6:7], s[2:3]
	s_cbranch_execz .LBB21_13
; %bb.10:
	ds_read_b64 v[8:9], v18
	s_waitcnt lgkmcnt(0)
	v_cmp_eq_u64_e32 vcc, v[3:4], v[8:9]
	s_and_saveexec_b64 s[8:9], vcc
	s_cbranch_execz .LBB21_12
; %bb.11:
	v_add_u32_e32 v8, -16, v16
	ds_read_b64 v[8:9], v8
	s_waitcnt lgkmcnt(0)
	v_add_f64 v[1:2], v[1:2], v[8:9]
.LBB21_12:
	s_or_b64 exec, exec, s[8:9]
.LBB21_13:
	s_or_b64 exec, exec, s[6:7]
	v_cmp_lt_u32_e64 s[20:21], 3, v0
	v_subrev_u32_e32 v19, 32, v15
	s_barrier
	ds_write_b64 v16, v[1:2]
	s_waitcnt lgkmcnt(0)
	s_barrier
	s_and_saveexec_b64 s[6:7], s[20:21]
	s_cbranch_execz .LBB21_17
; %bb.14:
	ds_read_b64 v[8:9], v19
	s_waitcnt lgkmcnt(0)
	v_cmp_eq_u64_e32 vcc, v[3:4], v[8:9]
	s_and_saveexec_b64 s[8:9], vcc
	s_cbranch_execz .LBB21_16
; %bb.15:
	v_subrev_u32_e32 v8, 32, v16
	ds_read_b64 v[8:9], v8
	s_waitcnt lgkmcnt(0)
	v_add_f64 v[1:2], v[1:2], v[8:9]
.LBB21_16:
	s_or_b64 exec, exec, s[8:9]
.LBB21_17:
	s_or_b64 exec, exec, s[6:7]
	v_cmp_lt_u32_e64 s[6:7], 7, v0
	v_subrev_u32_e32 v20, 64, v15
	s_barrier
	ds_write_b64 v16, v[1:2]
	s_waitcnt lgkmcnt(0)
	s_barrier
	s_and_saveexec_b64 s[8:9], s[6:7]
	s_cbranch_execz .LBB21_21
; %bb.18:
	ds_read_b64 v[8:9], v20
	s_waitcnt lgkmcnt(0)
	v_cmp_eq_u64_e32 vcc, v[3:4], v[8:9]
	s_and_saveexec_b64 s[10:11], vcc
	s_cbranch_execz .LBB21_20
; %bb.19:
	v_subrev_u32_e32 v8, 64, v16
	ds_read_b64 v[8:9], v8
	s_waitcnt lgkmcnt(0)
	v_add_f64 v[1:2], v[1:2], v[8:9]
.LBB21_20:
	s_or_b64 exec, exec, s[10:11]
.LBB21_21:
	s_or_b64 exec, exec, s[8:9]
	v_cmp_lt_u32_e64 s[8:9], 15, v0
	s_barrier
	ds_write_b64 v16, v[1:2]
	s_waitcnt lgkmcnt(0)
	s_barrier
	s_and_saveexec_b64 s[10:11], s[8:9]
	s_cbranch_execz .LBB21_25
; %bb.22:
	v_add_u32_e32 v8, 0xffffff80, v15
	ds_read_b64 v[8:9], v8
	s_waitcnt lgkmcnt(0)
	v_cmp_eq_u64_e32 vcc, v[3:4], v[8:9]
	s_and_saveexec_b64 s[12:13], vcc
	s_cbranch_execz .LBB21_24
; %bb.23:
	v_add_u32_e32 v8, 0xffffff80, v16
	ds_read_b64 v[8:9], v8
	s_waitcnt lgkmcnt(0)
	v_add_f64 v[1:2], v[1:2], v[8:9]
.LBB21_24:
	s_or_b64 exec, exec, s[12:13]
.LBB21_25:
	s_or_b64 exec, exec, s[10:11]
	v_cmp_lt_u32_e64 s[10:11], 31, v0
	s_barrier
	ds_write_b64 v16, v[1:2]
	s_waitcnt lgkmcnt(0)
	s_barrier
	s_and_saveexec_b64 s[12:13], s[10:11]
	s_cbranch_execz .LBB21_29
; %bb.26:
	v_add_u32_e32 v8, 0xffffff00, v15
	ds_read_b64 v[8:9], v8
	s_waitcnt lgkmcnt(0)
	v_cmp_eq_u64_e32 vcc, v[3:4], v[8:9]
	s_and_saveexec_b64 s[14:15], vcc
	s_cbranch_execz .LBB21_28
; %bb.27:
	v_add_u32_e32 v8, 0xffffff00, v16
	ds_read_b64 v[8:9], v8
	s_waitcnt lgkmcnt(0)
	v_add_f64 v[1:2], v[1:2], v[8:9]
.LBB21_28:
	s_or_b64 exec, exec, s[14:15]
.LBB21_29:
	;; [unrolled: 23-line block ×3, first 2 shown]
	s_or_b64 exec, exec, s[14:15]
	s_load_dwordx2 s[22:23], s[4:5], 0x30
	s_movk_i32 s4, 0x7f
	v_cmp_lt_u32_e64 s[14:15], s4, v0
	s_waitcnt lgkmcnt(0)
	s_barrier
	ds_write_b64 v16, v[1:2]
	s_waitcnt lgkmcnt(0)
	s_barrier
	s_and_saveexec_b64 s[4:5], s[14:15]
	s_cbranch_execz .LBB21_37
; %bb.34:
	v_add_u32_e32 v8, 0xfffffc00, v15
	ds_read_b64 v[8:9], v8
	s_waitcnt lgkmcnt(0)
	v_cmp_eq_u64_e32 vcc, v[3:4], v[8:9]
	s_and_saveexec_b64 s[16:17], vcc
	s_cbranch_execz .LBB21_36
; %bb.35:
	v_add_u32_e32 v8, 0xfffffc00, v16
	ds_read_b64 v[8:9], v8
	s_waitcnt lgkmcnt(0)
	v_add_f64 v[1:2], v[1:2], v[8:9]
.LBB21_36:
	s_or_b64 exec, exec, s[16:17]
.LBB21_37:
	s_or_b64 exec, exec, s[4:5]
	s_movk_i32 s4, 0xff
	v_cmp_gt_u32_e64 s[16:17], s4, v0
	s_barrier
	ds_write_b64 v16, v[1:2]
	s_waitcnt lgkmcnt(0)
	s_barrier
	s_and_saveexec_b64 s[38:39], s[16:17]
	s_cbranch_execz .LBB21_41
; %bb.38:
	ds_read_b64 v[8:9], v15 offset:8
	v_cmp_lt_i64_e64 s[4:5], -1, v[3:4]
	s_waitcnt lgkmcnt(0)
	v_cmp_ne_u64_e32 vcc, v[3:4], v[8:9]
	s_and_b64 s[4:5], s[4:5], vcc
	s_and_b64 exec, exec, s[4:5]
	s_cbranch_execz .LBB21_41
; %bb.39:
	v_lshlrev_b64 v[3:4], 3, v[3:4]
	v_mov_b32_e32 v9, s23
	v_add_co_u32_e32 v8, vcc, s22, v3
	v_addc_co_u32_e32 v9, vcc, v9, v4, vcc
	global_load_dwordx2 v[3:4], v[8:9], off
	v_mul_f64 v[13:14], v[5:6], v[1:2]
	s_mov_b64 s[4:5], 0
.LBB21_40:                              ; =>This Inner Loop Header: Depth=1
	s_waitcnt vmcnt(0)
	v_add_f64 v[1:2], v[3:4], v[13:14]
	global_atomic_cmpswap_x2 v[1:2], v[8:9], v[1:4], off glc
	s_waitcnt vmcnt(0)
	v_cmp_eq_u64_e32 vcc, v[1:2], v[3:4]
	v_mov_b32_e32 v4, v2
	s_or_b64 s[4:5], vcc, s[4:5]
	v_mov_b32_e32 v3, v1
	s_andn2_b64 exec, exec, s[4:5]
	s_cbranch_execnz .LBB21_40
.LBB21_41:
	s_or_b64 exec, exec, s[38:39]
	v_add_co_u32_e32 v1, vcc, 0x100, v7
	v_addc_co_u32_e64 v2, s[4:5], 0, 0, vcc
	v_cmp_gt_i64_e32 vcc, s[36:37], v[1:2]
	v_mov_b32_e32 v9, -1
	v_mov_b32_e32 v7, 0
	v_mov_b32_e32 v10, -1
	v_mov_b32_e32 v8, 0
	s_and_saveexec_b64 s[4:5], vcc
	s_cbranch_execz .LBB21_43
; %bb.42:
	v_mov_b32_e32 v2, s27
	v_add_co_u32_e32 v1, vcc, s26, v11
	v_addc_co_u32_e32 v2, vcc, v2, v12, vcc
	global_load_dwordx2 v[1:2], v[1:2], off offset:2048 glc slc
	v_mov_b32_e32 v4, s29
	v_add_co_u32_e32 v3, vcc, s28, v11
	v_addc_co_u32_e32 v4, vcc, v4, v12, vcc
	v_mov_b32_e32 v7, s31
	global_load_dwordx2 v[3:4], v[3:4], off offset:2048 glc slc
	v_mov_b32_e32 v8, s25
	s_waitcnt vmcnt(1)
	v_subrev_co_u32_e32 v1, vcc, s34, v1
	v_subbrev_co_u32_e32 v2, vcc, 0, v2, vcc
	v_lshlrev_b64 v[1:2], 3, v[1:2]
	v_add_co_u32_e32 v1, vcc, s30, v1
	v_addc_co_u32_e32 v2, vcc, v7, v2, vcc
	global_load_dwordx2 v[1:2], v[1:2], off
	v_add_co_u32_e32 v7, vcc, s24, v11
	v_addc_co_u32_e32 v8, vcc, v8, v12, vcc
	global_load_dwordx2 v[9:10], v[7:8], off offset:2048 glc slc
	s_waitcnt vmcnt(1)
	v_mul_f64 v[7:8], v[3:4], v[1:2]
	s_waitcnt vmcnt(0)
	v_subrev_co_u32_e32 v9, vcc, s34, v9
	v_subbrev_co_u32_e32 v10, vcc, 0, v10, vcc
.LBB21_43:
	s_or_b64 exec, exec, s[4:5]
	s_and_saveexec_b64 s[4:5], s[18:19]
	s_cbranch_execz .LBB21_56
; %bb.44:
	v_mov_b32_e32 v1, 0
	ds_read_b64 v[1:2], v1 offset:2040
	s_waitcnt lgkmcnt(0)
	v_cmp_ne_u64_e32 vcc, v[9:10], v[1:2]
	s_and_saveexec_b64 s[18:19], vcc
	s_xor_b64 s[18:19], exec, s[18:19]
	s_cbranch_execz .LBB21_53
; %bb.45:
	v_cmp_gt_i64_e32 vcc, 0, v[1:2]
	s_cbranch_vccnz .LBB21_53
; %bb.46:
	v_mov_b32_e32 v3, 0
	ds_read_b64 v[3:4], v3 offset:4088
	v_mov_b32_e32 v11, 0
	s_mov_b64 s[24:25], exec
	v_bfrev_b32_e32 v12, 1
	s_waitcnt lgkmcnt(0)
	v_mul_f64 v[3:4], v[5:6], v[3:4]
.LBB21_47:                              ; =>This Inner Loop Header: Depth=1
	s_ff1_i32_b64 s28, s[24:25]
	v_readlane_b32 s27, v4, s28
	v_readlane_b32 s26, v3, s28
	v_add_f64 v[11:12], v[11:12], s[26:27]
	s_lshl_b64 s[26:27], 1, s28
	s_andn2_b64 s[24:25], s[24:25], s[26:27]
	s_cmp_lg_u64 s[24:25], 0
	s_cbranch_scc1 .LBB21_47
; %bb.48:
	v_mbcnt_lo_u32_b32 v3, exec_lo, 0
	v_mbcnt_hi_u32_b32 v3, exec_hi, v3
	v_cmp_eq_u32_e32 vcc, 0, v3
	s_and_saveexec_b64 s[24:25], vcc
	s_xor_b64 s[24:25], exec, s[24:25]
	s_cbranch_execz .LBB21_52
; %bb.49:
	v_lshlrev_b64 v[1:2], 3, v[1:2]
	v_mov_b32_e32 v3, s23
	v_add_co_u32_e32 v13, vcc, s22, v1
	v_addc_co_u32_e32 v14, vcc, v3, v2, vcc
	global_load_dwordx2 v[3:4], v[13:14], off
	s_mov_b64 s[26:27], 0
.LBB21_50:                              ; =>This Inner Loop Header: Depth=1
	s_waitcnt vmcnt(0)
	v_add_f64 v[1:2], v[3:4], v[11:12]
	global_atomic_cmpswap_x2 v[1:2], v[13:14], v[1:4], off glc
	s_waitcnt vmcnt(0)
	v_cmp_eq_u64_e32 vcc, v[1:2], v[3:4]
	v_mov_b32_e32 v4, v2
	s_or_b64 s[26:27], vcc, s[26:27]
	v_mov_b32_e32 v3, v1
	s_andn2_b64 exec, exec, s[26:27]
	s_cbranch_execnz .LBB21_50
; %bb.51:
	s_or_b64 exec, exec, s[26:27]
.LBB21_52:
	s_or_b64 exec, exec, s[24:25]
.LBB21_53:
	s_andn2_saveexec_b64 s[18:19], s[18:19]
	s_cbranch_execz .LBB21_55
; %bb.54:
	v_mov_b32_e32 v1, 0
	ds_read_b64 v[1:2], v1 offset:4088
	s_waitcnt lgkmcnt(0)
	v_add_f64 v[7:8], v[7:8], v[1:2]
.LBB21_55:
	s_or_b64 exec, exec, s[18:19]
.LBB21_56:
	s_or_b64 exec, exec, s[4:5]
	s_barrier
	ds_write_b64 v15, v[9:10]
	ds_write_b64 v16, v[7:8]
	s_waitcnt lgkmcnt(0)
	s_barrier
	s_and_saveexec_b64 s[4:5], s[0:1]
	s_cbranch_execz .LBB21_60
; %bb.57:
	ds_read_b64 v[1:2], v17
	s_waitcnt lgkmcnt(0)
	v_cmp_eq_u64_e32 vcc, v[9:10], v[1:2]
	s_and_saveexec_b64 s[0:1], vcc
	s_cbranch_execz .LBB21_59
; %bb.58:
	v_add_u32_e32 v1, -8, v16
	ds_read_b64 v[1:2], v1
	s_waitcnt lgkmcnt(0)
	v_add_f64 v[7:8], v[7:8], v[1:2]
.LBB21_59:
	s_or_b64 exec, exec, s[0:1]
.LBB21_60:
	s_or_b64 exec, exec, s[4:5]
	s_barrier
	ds_write_b64 v16, v[7:8]
	s_waitcnt lgkmcnt(0)
	s_barrier
	s_and_saveexec_b64 s[0:1], s[2:3]
	s_cbranch_execz .LBB21_64
; %bb.61:
	ds_read_b64 v[1:2], v18
	s_waitcnt lgkmcnt(0)
	v_cmp_eq_u64_e32 vcc, v[9:10], v[1:2]
	s_and_saveexec_b64 s[2:3], vcc
	s_cbranch_execz .LBB21_63
; %bb.62:
	v_add_u32_e32 v1, -16, v16
	ds_read_b64 v[1:2], v1
	s_waitcnt lgkmcnt(0)
	v_add_f64 v[7:8], v[7:8], v[1:2]
.LBB21_63:
	s_or_b64 exec, exec, s[2:3]
.LBB21_64:
	s_or_b64 exec, exec, s[0:1]
	s_barrier
	ds_write_b64 v16, v[7:8]
	s_waitcnt lgkmcnt(0)
	s_barrier
	s_and_saveexec_b64 s[0:1], s[20:21]
	s_cbranch_execz .LBB21_68
; %bb.65:
	ds_read_b64 v[1:2], v19
	s_waitcnt lgkmcnt(0)
	v_cmp_eq_u64_e32 vcc, v[9:10], v[1:2]
	s_and_saveexec_b64 s[2:3], vcc
	s_cbranch_execz .LBB21_67
; %bb.66:
	v_subrev_u32_e32 v1, 32, v16
	ds_read_b64 v[1:2], v1
	s_waitcnt lgkmcnt(0)
	v_add_f64 v[7:8], v[7:8], v[1:2]
.LBB21_67:
	s_or_b64 exec, exec, s[2:3]
.LBB21_68:
	s_or_b64 exec, exec, s[0:1]
	s_barrier
	ds_write_b64 v16, v[7:8]
	s_waitcnt lgkmcnt(0)
	s_barrier
	s_and_saveexec_b64 s[0:1], s[6:7]
	s_cbranch_execz .LBB21_72
; %bb.69:
	ds_read_b64 v[1:2], v20
	s_waitcnt lgkmcnt(0)
	v_cmp_eq_u64_e32 vcc, v[9:10], v[1:2]
	s_and_saveexec_b64 s[2:3], vcc
	s_cbranch_execz .LBB21_71
; %bb.70:
	v_subrev_u32_e32 v1, 64, v16
	ds_read_b64 v[1:2], v1
	s_waitcnt lgkmcnt(0)
	v_add_f64 v[7:8], v[7:8], v[1:2]
.LBB21_71:
	s_or_b64 exec, exec, s[2:3]
.LBB21_72:
	s_or_b64 exec, exec, s[0:1]
	s_barrier
	ds_write_b64 v16, v[7:8]
	s_waitcnt lgkmcnt(0)
	s_barrier
	s_and_saveexec_b64 s[0:1], s[8:9]
	s_cbranch_execz .LBB21_76
; %bb.73:
	v_add_u32_e32 v1, 0xffffff80, v15
	ds_read_b64 v[1:2], v1
	s_waitcnt lgkmcnt(0)
	v_cmp_eq_u64_e32 vcc, v[9:10], v[1:2]
	s_and_saveexec_b64 s[2:3], vcc
	s_cbranch_execz .LBB21_75
; %bb.74:
	v_add_u32_e32 v1, 0xffffff80, v16
	ds_read_b64 v[1:2], v1
	s_waitcnt lgkmcnt(0)
	v_add_f64 v[7:8], v[7:8], v[1:2]
.LBB21_75:
	s_or_b64 exec, exec, s[2:3]
.LBB21_76:
	s_or_b64 exec, exec, s[0:1]
	s_barrier
	ds_write_b64 v16, v[7:8]
	s_waitcnt lgkmcnt(0)
	s_barrier
	s_and_saveexec_b64 s[0:1], s[10:11]
	s_cbranch_execz .LBB21_80
; %bb.77:
	v_add_u32_e32 v1, 0xffffff00, v15
	ds_read_b64 v[1:2], v1
	s_waitcnt lgkmcnt(0)
	v_cmp_eq_u64_e32 vcc, v[9:10], v[1:2]
	s_and_saveexec_b64 s[2:3], vcc
	s_cbranch_execz .LBB21_79
; %bb.78:
	v_add_u32_e32 v1, 0xffffff00, v16
	ds_read_b64 v[1:2], v1
	s_waitcnt lgkmcnt(0)
	v_add_f64 v[7:8], v[7:8], v[1:2]
.LBB21_79:
	s_or_b64 exec, exec, s[2:3]
.LBB21_80:
	;; [unrolled: 22-line block ×4, first 2 shown]
	s_or_b64 exec, exec, s[0:1]
	s_barrier
	ds_write_b64 v16, v[7:8]
	s_waitcnt lgkmcnt(0)
	s_barrier
	s_and_saveexec_b64 s[2:3], s[16:17]
	s_cbranch_execz .LBB21_92
; %bb.89:
	ds_read_b64 v[1:2], v15 offset:8
	v_cmp_lt_i64_e64 s[0:1], -1, v[9:10]
	s_waitcnt lgkmcnt(0)
	v_cmp_ne_u64_e32 vcc, v[9:10], v[1:2]
	s_and_b64 s[0:1], s[0:1], vcc
	s_and_b64 exec, exec, s[0:1]
	s_cbranch_execz .LBB21_92
; %bb.90:
	v_lshlrev_b64 v[1:2], 3, v[9:10]
	v_mov_b32_e32 v3, s23
	v_add_co_u32_e32 v11, vcc, s22, v1
	v_addc_co_u32_e32 v12, vcc, v3, v2, vcc
	global_load_dwordx2 v[3:4], v[11:12], off
	v_mul_f64 v[13:14], v[5:6], v[7:8]
	s_mov_b64 s[0:1], 0
.LBB21_91:                              ; =>This Inner Loop Header: Depth=1
	s_waitcnt vmcnt(0)
	v_add_f64 v[1:2], v[3:4], v[13:14]
	global_atomic_cmpswap_x2 v[1:2], v[11:12], v[1:4], off glc
	s_waitcnt vmcnt(0)
	v_cmp_eq_u64_e32 vcc, v[1:2], v[3:4]
	v_mov_b32_e32 v4, v2
	s_or_b64 s[0:1], vcc, s[0:1]
	v_mov_b32_e32 v3, v1
	s_andn2_b64 exec, exec, s[0:1]
	s_cbranch_execnz .LBB21_91
.LBB21_92:
	s_or_b64 exec, exec, s[2:3]
	s_movk_i32 s0, 0xff
	v_cmp_lt_i64_e32 vcc, -1, v[9:10]
	v_cmp_eq_u32_e64 s[0:1], s0, v0
	s_and_b64 s[0:1], s[0:1], vcc
	s_and_b64 exec, exec, s[0:1]
	s_cbranch_execz .LBB21_95
; %bb.93:
	v_lshlrev_b64 v[0:1], 3, v[9:10]
	v_mov_b32_e32 v2, s23
	v_add_co_u32_e32 v9, vcc, s22, v0
	v_addc_co_u32_e32 v10, vcc, v2, v1, vcc
	global_load_dwordx2 v[2:3], v[9:10], off
	v_mul_f64 v[4:5], v[5:6], v[7:8]
	s_mov_b64 s[0:1], 0
.LBB21_94:                              ; =>This Inner Loop Header: Depth=1
	s_waitcnt vmcnt(0)
	v_add_f64 v[0:1], v[2:3], v[4:5]
	global_atomic_cmpswap_x2 v[0:1], v[9:10], v[0:3], off glc
	s_waitcnt vmcnt(0)
	v_cmp_eq_u64_e32 vcc, v[0:1], v[2:3]
	v_mov_b32_e32 v3, v1
	s_or_b64 s[0:1], vcc, s[0:1]
	v_mov_b32_e32 v2, v0
	s_andn2_b64 exec, exec, s[0:1]
	s_cbranch_execnz .LBB21_94
.LBB21_95:
	s_endpgm
	.section	.rodata,"a",@progbits
	.p2align	6, 0x0
	.amdhsa_kernel _ZN9rocsparseL19coomvn_atomic_loopsILj256ELj2ElddddEEvlNS_24const_host_device_scalarIT5_EEPKT1_S6_PKT2_PKT3_PT4_21rocsparse_index_base_b
		.amdhsa_group_segment_fixed_size 4096
		.amdhsa_private_segment_fixed_size 0
		.amdhsa_kernarg_size 64
		.amdhsa_user_sgpr_count 6
		.amdhsa_user_sgpr_private_segment_buffer 1
		.amdhsa_user_sgpr_dispatch_ptr 0
		.amdhsa_user_sgpr_queue_ptr 0
		.amdhsa_user_sgpr_kernarg_segment_ptr 1
		.amdhsa_user_sgpr_dispatch_id 0
		.amdhsa_user_sgpr_flat_scratch_init 0
		.amdhsa_user_sgpr_private_segment_size 0
		.amdhsa_uses_dynamic_stack 0
		.amdhsa_system_sgpr_private_segment_wavefront_offset 0
		.amdhsa_system_sgpr_workgroup_id_x 1
		.amdhsa_system_sgpr_workgroup_id_y 0
		.amdhsa_system_sgpr_workgroup_id_z 0
		.amdhsa_system_sgpr_workgroup_info 0
		.amdhsa_system_vgpr_workitem_id 0
		.amdhsa_next_free_vgpr 21
		.amdhsa_next_free_sgpr 40
		.amdhsa_reserve_vcc 1
		.amdhsa_reserve_flat_scratch 0
		.amdhsa_float_round_mode_32 0
		.amdhsa_float_round_mode_16_64 0
		.amdhsa_float_denorm_mode_32 3
		.amdhsa_float_denorm_mode_16_64 3
		.amdhsa_dx10_clamp 1
		.amdhsa_ieee_mode 1
		.amdhsa_fp16_overflow 0
		.amdhsa_exception_fp_ieee_invalid_op 0
		.amdhsa_exception_fp_denorm_src 0
		.amdhsa_exception_fp_ieee_div_zero 0
		.amdhsa_exception_fp_ieee_overflow 0
		.amdhsa_exception_fp_ieee_underflow 0
		.amdhsa_exception_fp_ieee_inexact 0
		.amdhsa_exception_int_div_zero 0
	.end_amdhsa_kernel
	.section	.text._ZN9rocsparseL19coomvn_atomic_loopsILj256ELj2ElddddEEvlNS_24const_host_device_scalarIT5_EEPKT1_S6_PKT2_PKT3_PT4_21rocsparse_index_base_b,"axG",@progbits,_ZN9rocsparseL19coomvn_atomic_loopsILj256ELj2ElddddEEvlNS_24const_host_device_scalarIT5_EEPKT1_S6_PKT2_PKT3_PT4_21rocsparse_index_base_b,comdat
.Lfunc_end21:
	.size	_ZN9rocsparseL19coomvn_atomic_loopsILj256ELj2ElddddEEvlNS_24const_host_device_scalarIT5_EEPKT1_S6_PKT2_PKT3_PT4_21rocsparse_index_base_b, .Lfunc_end21-_ZN9rocsparseL19coomvn_atomic_loopsILj256ELj2ElddddEEvlNS_24const_host_device_scalarIT5_EEPKT1_S6_PKT2_PKT3_PT4_21rocsparse_index_base_b
                                        ; -- End function
	.set _ZN9rocsparseL19coomvn_atomic_loopsILj256ELj2ElddddEEvlNS_24const_host_device_scalarIT5_EEPKT1_S6_PKT2_PKT3_PT4_21rocsparse_index_base_b.num_vgpr, 21
	.set _ZN9rocsparseL19coomvn_atomic_loopsILj256ELj2ElddddEEvlNS_24const_host_device_scalarIT5_EEPKT1_S6_PKT2_PKT3_PT4_21rocsparse_index_base_b.num_agpr, 0
	.set _ZN9rocsparseL19coomvn_atomic_loopsILj256ELj2ElddddEEvlNS_24const_host_device_scalarIT5_EEPKT1_S6_PKT2_PKT3_PT4_21rocsparse_index_base_b.numbered_sgpr, 40
	.set _ZN9rocsparseL19coomvn_atomic_loopsILj256ELj2ElddddEEvlNS_24const_host_device_scalarIT5_EEPKT1_S6_PKT2_PKT3_PT4_21rocsparse_index_base_b.num_named_barrier, 0
	.set _ZN9rocsparseL19coomvn_atomic_loopsILj256ELj2ElddddEEvlNS_24const_host_device_scalarIT5_EEPKT1_S6_PKT2_PKT3_PT4_21rocsparse_index_base_b.private_seg_size, 0
	.set _ZN9rocsparseL19coomvn_atomic_loopsILj256ELj2ElddddEEvlNS_24const_host_device_scalarIT5_EEPKT1_S6_PKT2_PKT3_PT4_21rocsparse_index_base_b.uses_vcc, 1
	.set _ZN9rocsparseL19coomvn_atomic_loopsILj256ELj2ElddddEEvlNS_24const_host_device_scalarIT5_EEPKT1_S6_PKT2_PKT3_PT4_21rocsparse_index_base_b.uses_flat_scratch, 0
	.set _ZN9rocsparseL19coomvn_atomic_loopsILj256ELj2ElddddEEvlNS_24const_host_device_scalarIT5_EEPKT1_S6_PKT2_PKT3_PT4_21rocsparse_index_base_b.has_dyn_sized_stack, 0
	.set _ZN9rocsparseL19coomvn_atomic_loopsILj256ELj2ElddddEEvlNS_24const_host_device_scalarIT5_EEPKT1_S6_PKT2_PKT3_PT4_21rocsparse_index_base_b.has_recursion, 0
	.set _ZN9rocsparseL19coomvn_atomic_loopsILj256ELj2ElddddEEvlNS_24const_host_device_scalarIT5_EEPKT1_S6_PKT2_PKT3_PT4_21rocsparse_index_base_b.has_indirect_call, 0
	.section	.AMDGPU.csdata,"",@progbits
; Kernel info:
; codeLenInByte = 2728
; TotalNumSgprs: 44
; NumVgprs: 21
; ScratchSize: 0
; MemoryBound: 1
; FloatMode: 240
; IeeeMode: 1
; LDSByteSize: 4096 bytes/workgroup (compile time only)
; SGPRBlocks: 5
; VGPRBlocks: 5
; NumSGPRsForWavesPerEU: 44
; NumVGPRsForWavesPerEU: 21
; Occupancy: 10
; WaveLimiterHint : 1
; COMPUTE_PGM_RSRC2:SCRATCH_EN: 0
; COMPUTE_PGM_RSRC2:USER_SGPR: 6
; COMPUTE_PGM_RSRC2:TRAP_HANDLER: 0
; COMPUTE_PGM_RSRC2:TGID_X_EN: 1
; COMPUTE_PGM_RSRC2:TGID_Y_EN: 0
; COMPUTE_PGM_RSRC2:TGID_Z_EN: 0
; COMPUTE_PGM_RSRC2:TIDIG_COMP_CNT: 0
	.section	.text._ZN9rocsparseL22coomvn_segmented_loopsILj256Ei21rocsparse_complex_numIfES2_S2_S2_EEvlT0_NS_24const_host_device_scalarIT4_EEPKS3_S8_PKT1_PKT2_PT3_PS3_PS5_21rocsparse_index_base_b,"axG",@progbits,_ZN9rocsparseL22coomvn_segmented_loopsILj256Ei21rocsparse_complex_numIfES2_S2_S2_EEvlT0_NS_24const_host_device_scalarIT4_EEPKS3_S8_PKT1_PKT2_PT3_PS3_PS5_21rocsparse_index_base_b,comdat
	.globl	_ZN9rocsparseL22coomvn_segmented_loopsILj256Ei21rocsparse_complex_numIfES2_S2_S2_EEvlT0_NS_24const_host_device_scalarIT4_EEPKS3_S8_PKT1_PKT2_PT3_PS3_PS5_21rocsparse_index_base_b ; -- Begin function _ZN9rocsparseL22coomvn_segmented_loopsILj256Ei21rocsparse_complex_numIfES2_S2_S2_EEvlT0_NS_24const_host_device_scalarIT4_EEPKS3_S8_PKT1_PKT2_PT3_PS3_PS5_21rocsparse_index_base_b
	.p2align	8
	.type	_ZN9rocsparseL22coomvn_segmented_loopsILj256Ei21rocsparse_complex_numIfES2_S2_S2_EEvlT0_NS_24const_host_device_scalarIT4_EEPKS3_S8_PKT1_PKT2_PT3_PS3_PS5_21rocsparse_index_base_b,@function
_ZN9rocsparseL22coomvn_segmented_loopsILj256Ei21rocsparse_complex_numIfES2_S2_S2_EEvlT0_NS_24const_host_device_scalarIT4_EEPKS3_S8_PKT1_PKT2_PT3_PS3_PS5_21rocsparse_index_base_b: ; @_ZN9rocsparseL22coomvn_segmented_loopsILj256Ei21rocsparse_complex_numIfES2_S2_S2_EEvlT0_NS_24const_host_device_scalarIT4_EEPKS3_S8_PKT1_PKT2_PT3_PS3_PS5_21rocsparse_index_base_b
; %bb.0:
	s_load_dwordx2 s[28:29], s[4:5], 0x50
	s_load_dwordx2 s[0:1], s[4:5], 0x10
	s_add_u32 s2, s4, 16
	s_addc_u32 s3, s5, 0
	s_waitcnt lgkmcnt(0)
	s_bitcmp1_b32 s29, 0
	s_cselect_b32 s1, s3, s1
	s_cselect_b32 s0, s2, s0
	v_mov_b32_e32 v1, s0
	v_mov_b32_e32 v2, s1
	flat_load_dwordx2 v[1:2], v[1:2]
	s_waitcnt vmcnt(0) lgkmcnt(0)
	v_cmp_neq_f32_e32 vcc, 0, v1
	v_cmp_neq_f32_e64 s[0:1], 0, v2
	s_or_b64 s[0:1], vcc, s[0:1]
	s_and_saveexec_b64 s[2:3], s[0:1]
	s_cbranch_execz .LBB22_87
; %bb.1:
	s_load_dword s33, s[4:5], 0x8
	s_load_dwordx2 s[30:31], s[4:5], 0x0
	s_load_dwordx8 s[36:43], s[4:5], 0x18
	v_mov_b32_e32 v14, 0
	v_mov_b32_e32 v3, -1
	s_waitcnt lgkmcnt(0)
	s_mul_i32 s0, s6, s33
	v_lshl_or_b32 v13, s0, 8, v0
	v_cmp_gt_i64_e32 vcc, s[30:31], v[13:14]
	v_lshlrev_b64 v[7:8], 2, v[13:14]
	v_lshlrev_b64 v[9:10], 3, v[13:14]
	v_mov_b32_e32 v5, v14
	v_mov_b32_e32 v6, v14
	s_and_saveexec_b64 s[0:1], vcc
	s_cbranch_execz .LBB22_3
; %bb.2:
	v_mov_b32_e32 v4, s39
	v_add_co_u32_e32 v3, vcc, s38, v7
	v_addc_co_u32_e32 v4, vcc, v4, v8, vcc
	global_load_dword v3, v[3:4], off glc slc
	v_mov_b32_e32 v5, s37
	v_add_co_u32_e32 v4, vcc, s36, v7
	v_addc_co_u32_e32 v5, vcc, v5, v8, vcc
	v_mov_b32_e32 v6, s41
	v_add_co_u32_e32 v11, vcc, s40, v9
	v_addc_co_u32_e32 v12, vcc, v6, v10, vcc
	global_load_dword v6, v[4:5], off glc slc
	global_load_dwordx2 v[14:15], v[11:12], off glc slc
	v_mov_b32_e32 v16, s43
	s_ashr_i32 s29, s28, 31
	s_lshl_b64 s[2:3], s[28:29], 3
	v_mov_b32_e32 v5, s3
	s_waitcnt vmcnt(2)
	v_ashrrev_i32_e32 v4, 31, v3
	v_lshlrev_b64 v[3:4], 3, v[3:4]
	v_add_co_u32_e32 v3, vcc, s42, v3
	v_addc_co_u32_e32 v4, vcc, v16, v4, vcc
	v_subrev_co_u32_e32 v3, vcc, s2, v3
	v_subb_co_u32_e32 v4, vcc, v4, v5, vcc
	global_load_dwordx2 v[11:12], v[3:4], off
	s_waitcnt vmcnt(2)
	v_subrev_u32_e32 v3, s28, v6
	s_waitcnt vmcnt(0)
	v_mul_f32_e64 v5, v12, -v15
	v_mul_f32_e32 v6, v14, v12
	v_fmac_f32_e32 v5, v14, v11
	v_fmac_f32_e32 v6, v15, v11
.LBB22_3:
	s_or_b64 exec, exec, s[0:1]
	v_lshlrev_b32_e32 v4, 2, v0
	v_or_b32_e32 v15, 0x800, v4
	v_lshlrev_b32_e32 v16, 3, v0
	v_cmp_eq_u32_e64 s[0:1], 0, v0
	v_cmp_ne_u32_e64 s[2:3], 0, v0
	v_add_u32_e32 v17, -4, v15
	ds_write_b32 v4, v3 offset:2048
	ds_write_b64 v16, v[5:6]
	s_waitcnt lgkmcnt(0)
	s_barrier
	s_and_saveexec_b64 s[8:9], s[2:3]
	s_cbranch_execz .LBB22_7
; %bb.4:
	ds_read_b32 v4, v17
	s_waitcnt lgkmcnt(0)
	v_cmp_eq_u32_e32 vcc, v3, v4
	s_and_saveexec_b64 s[10:11], vcc
	s_cbranch_execz .LBB22_6
; %bb.5:
	v_add_u32_e32 v4, -8, v16
	ds_read_b64 v[11:12], v4
	s_waitcnt lgkmcnt(0)
	v_add_f32_e32 v5, v5, v11
	v_add_f32_e32 v6, v6, v12
.LBB22_6:
	s_or_b64 exec, exec, s[10:11]
.LBB22_7:
	s_or_b64 exec, exec, s[8:9]
	v_cmp_lt_u32_e64 s[22:23], 1, v0
	v_add_u32_e32 v18, -8, v15
	s_barrier
	ds_write_b64 v16, v[5:6]
	s_waitcnt lgkmcnt(0)
	s_barrier
	s_and_saveexec_b64 s[8:9], s[22:23]
	s_cbranch_execz .LBB22_11
; %bb.8:
	ds_read_b32 v4, v18
	s_waitcnt lgkmcnt(0)
	v_cmp_eq_u32_e32 vcc, v3, v4
	s_and_saveexec_b64 s[10:11], vcc
	s_cbranch_execz .LBB22_10
; %bb.9:
	v_add_u32_e32 v4, -16, v16
	ds_read_b64 v[11:12], v4
	s_waitcnt lgkmcnt(0)
	v_add_f32_e32 v5, v5, v11
	v_add_f32_e32 v6, v6, v12
.LBB22_10:
	s_or_b64 exec, exec, s[10:11]
.LBB22_11:
	s_or_b64 exec, exec, s[8:9]
	v_cmp_lt_u32_e64 s[8:9], 3, v0
	v_add_u32_e32 v19, -16, v15
	s_barrier
	ds_write_b64 v16, v[5:6]
	s_waitcnt lgkmcnt(0)
	s_barrier
	s_and_saveexec_b64 s[10:11], s[8:9]
	s_cbranch_execz .LBB22_15
; %bb.12:
	ds_read_b32 v4, v19
	s_waitcnt lgkmcnt(0)
	v_cmp_eq_u32_e32 vcc, v3, v4
	s_and_saveexec_b64 s[12:13], vcc
	s_cbranch_execz .LBB22_14
; %bb.13:
	v_subrev_u32_e32 v4, 32, v16
	ds_read_b64 v[11:12], v4
	s_waitcnt lgkmcnt(0)
	v_add_f32_e32 v5, v5, v11
	v_add_f32_e32 v6, v6, v12
.LBB22_14:
	s_or_b64 exec, exec, s[12:13]
.LBB22_15:
	s_or_b64 exec, exec, s[10:11]
	v_cmp_lt_u32_e64 s[10:11], 7, v0
	v_subrev_u32_e32 v20, 32, v15
	s_barrier
	ds_write_b64 v16, v[5:6]
	s_waitcnt lgkmcnt(0)
	s_barrier
	s_and_saveexec_b64 s[12:13], s[10:11]
	s_cbranch_execz .LBB22_19
; %bb.16:
	ds_read_b32 v4, v20
	s_waitcnt lgkmcnt(0)
	v_cmp_eq_u32_e32 vcc, v3, v4
	s_and_saveexec_b64 s[14:15], vcc
	s_cbranch_execz .LBB22_18
; %bb.17:
	v_subrev_u32_e32 v4, 64, v16
	ds_read_b64 v[11:12], v4
	s_waitcnt lgkmcnt(0)
	v_add_f32_e32 v5, v5, v11
	v_add_f32_e32 v6, v6, v12
.LBB22_18:
	s_or_b64 exec, exec, s[14:15]
.LBB22_19:
	s_or_b64 exec, exec, s[12:13]
	v_cmp_lt_u32_e64 s[12:13], 15, v0
	v_subrev_u32_e32 v21, 64, v15
	s_barrier
	ds_write_b64 v16, v[5:6]
	s_waitcnt lgkmcnt(0)
	s_barrier
	s_and_saveexec_b64 s[14:15], s[12:13]
	s_cbranch_execz .LBB22_23
; %bb.20:
	ds_read_b32 v4, v21
	s_waitcnt lgkmcnt(0)
	v_cmp_eq_u32_e32 vcc, v3, v4
	s_and_saveexec_b64 s[16:17], vcc
	s_cbranch_execz .LBB22_22
; %bb.21:
	v_add_u32_e32 v4, 0xffffff80, v16
	ds_read_b64 v[11:12], v4
	s_waitcnt lgkmcnt(0)
	v_add_f32_e32 v5, v5, v11
	v_add_f32_e32 v6, v6, v12
.LBB22_22:
	s_or_b64 exec, exec, s[16:17]
.LBB22_23:
	s_or_b64 exec, exec, s[14:15]
	v_cmp_lt_u32_e64 s[14:15], 31, v0
	s_barrier
	ds_write_b64 v16, v[5:6]
	s_waitcnt lgkmcnt(0)
	s_barrier
	s_and_saveexec_b64 s[16:17], s[14:15]
	s_cbranch_execz .LBB22_27
; %bb.24:
	v_add_u32_e32 v4, 0xffffff80, v15
	ds_read_b32 v4, v4
	s_waitcnt lgkmcnt(0)
	v_cmp_eq_u32_e32 vcc, v3, v4
	s_and_saveexec_b64 s[18:19], vcc
	s_cbranch_execz .LBB22_26
; %bb.25:
	v_add_u32_e32 v4, 0xffffff00, v16
	ds_read_b64 v[11:12], v4
	s_waitcnt lgkmcnt(0)
	v_add_f32_e32 v5, v5, v11
	v_add_f32_e32 v6, v6, v12
.LBB22_26:
	s_or_b64 exec, exec, s[18:19]
.LBB22_27:
	s_or_b64 exec, exec, s[16:17]
	v_cmp_lt_u32_e64 s[16:17], 63, v0
	s_barrier
	ds_write_b64 v16, v[5:6]
	s_waitcnt lgkmcnt(0)
	s_barrier
	s_and_saveexec_b64 s[18:19], s[16:17]
	s_cbranch_execz .LBB22_31
; %bb.28:
	v_add_u32_e32 v4, 0xffffff00, v15
	ds_read_b32 v4, v4
	s_waitcnt lgkmcnt(0)
	v_cmp_eq_u32_e32 vcc, v3, v4
	s_and_saveexec_b64 s[20:21], vcc
	s_cbranch_execz .LBB22_30
; %bb.29:
	v_add_u32_e32 v4, 0xfffffe00, v16
	ds_read_b64 v[11:12], v4
	s_waitcnt lgkmcnt(0)
	v_add_f32_e32 v5, v5, v11
	v_add_f32_e32 v6, v6, v12
.LBB22_30:
	s_or_b64 exec, exec, s[20:21]
.LBB22_31:
	s_or_b64 exec, exec, s[18:19]
	s_load_dwordx2 s[34:35], s[4:5], 0x38
	s_movk_i32 s7, 0x7f
	v_cmp_lt_u32_e64 s[18:19], s7, v0
	s_waitcnt lgkmcnt(0)
	s_barrier
	ds_write_b64 v16, v[5:6]
	s_waitcnt lgkmcnt(0)
	s_barrier
	s_and_saveexec_b64 s[20:21], s[18:19]
	s_cbranch_execz .LBB22_35
; %bb.32:
	v_add_u32_e32 v4, 0xfffffe00, v15
	ds_read_b32 v4, v4
	s_waitcnt lgkmcnt(0)
	v_cmp_eq_u32_e32 vcc, v3, v4
	s_and_saveexec_b64 s[24:25], vcc
	s_cbranch_execz .LBB22_34
; %bb.33:
	v_add_u32_e32 v4, 0xfffffc00, v16
	ds_read_b64 v[11:12], v4
	s_waitcnt lgkmcnt(0)
	v_add_f32_e32 v5, v5, v11
	v_add_f32_e32 v6, v6, v12
.LBB22_34:
	s_or_b64 exec, exec, s[24:25]
.LBB22_35:
	s_or_b64 exec, exec, s[20:21]
	s_movk_i32 s7, 0xff
	v_cmp_gt_u32_e64 s[20:21], s7, v0
	s_barrier
	ds_write_b64 v16, v[5:6]
	s_waitcnt lgkmcnt(0)
	s_barrier
	s_and_saveexec_b64 s[26:27], s[20:21]
	s_cbranch_execz .LBB22_38
; %bb.36:
	ds_read_b32 v4, v15 offset:4
	v_cmp_lt_i32_e64 s[24:25], -1, v3
	s_waitcnt lgkmcnt(0)
	v_cmp_ne_u32_e32 vcc, v3, v4
	s_and_b64 s[24:25], s[24:25], vcc
	s_and_b64 exec, exec, s[24:25]
	s_cbranch_execz .LBB22_38
; %bb.37:
	v_mov_b32_e32 v4, 0
	v_lshlrev_b64 v[11:12], 3, v[3:4]
	v_mov_b32_e32 v4, s35
	v_add_co_u32_e32 v11, vcc, s34, v11
	v_addc_co_u32_e32 v12, vcc, v4, v12, vcc
	global_load_dwordx2 v[22:23], v[11:12], off
	s_waitcnt vmcnt(0)
	v_fma_f32 v4, v1, v5, v22
	v_fmac_f32_e32 v23, v2, v5
	v_fma_f32 v22, -v2, v6, v4
	v_fmac_f32_e32 v23, v1, v6
	global_store_dwordx2 v[11:12], v[22:23], off
.LBB22_38:
	s_or_b64 exec, exec, s[26:27]
	s_load_dwordx4 s[24:27], s[4:5], 0x40
	s_cmp_lt_i32 s33, 2
	s_cbranch_scc1 .LBB22_85
; %bb.39:
	s_ashr_i32 s29, s28, 31
	s_lshl_b64 s[4:5], s[28:29], 3
	s_sub_u32 s7, s42, s4
	s_movk_i32 s4, 0x400
	v_add_co_u32_e32 v3, vcc, s4, v7
	v_addc_co_u32_e32 v4, vcc, 0, v8, vcc
	v_mov_b32_e32 v5, s39
	v_add_co_u32_e32 v7, vcc, s38, v3
	v_addc_co_u32_e32 v8, vcc, v5, v4, vcc
	v_mov_b32_e32 v5, s41
	;; [unrolled: 3-line block ×3, first 2 shown]
	v_add_co_u32_e32 v9, vcc, s36, v3
	v_addc_co_u32_e32 v10, vcc, v10, v4, vcc
	s_movk_i32 s4, 0x800
	v_add_co_u32_e32 v11, vcc, s4, v6
	v_addc_co_u32_e32 v12, vcc, 0, v5, vcc
	s_movk_i32 s4, 0x100
	v_add_co_u32_e32 v13, vcc, s4, v13
	s_subb_u32 s29, s43, s5
	v_subrev_u32_e32 v22, 32, v16
	v_subrev_u32_e32 v23, 64, v16
	v_add_u32_e32 v24, 0xffffff80, v16
	v_add_u32_e32 v25, 0xffffff80, v15
	v_add_u32_e32 v26, 0xffffff00, v16
	v_add_u32_e32 v27, 0xffffff00, v15
	v_add_u32_e32 v28, 0xfffffe00, v16
	v_add_u32_e32 v29, 0xfffffe00, v15
	v_addc_co_u32_e64 v14, s[4:5], 0, 0, vcc
	s_add_i32 s33, s33, -1
	s_mov_b32 s37, 0
	v_add_u32_e32 v30, 0xfffffc00, v16
	v_mov_b32_e32 v4, 0
	s_branch .LBB22_41
.LBB22_40:                              ;   in Loop: Header=BB22_41 Depth=1
	s_or_b64 exec, exec, s[38:39]
	v_add_co_u32_e32 v7, vcc, 0x400, v7
	v_addc_co_u32_e32 v8, vcc, 0, v8, vcc
	v_add_co_u32_e32 v11, vcc, 0x800, v11
	v_addc_co_u32_e32 v12, vcc, 0, v12, vcc
	;; [unrolled: 2-line block ×3, first 2 shown]
	v_add_co_u32_e32 v13, vcc, 0x100, v13
	s_add_i32 s33, s33, -1
	s_cmp_eq_u32 s33, 0
	v_addc_co_u32_e32 v14, vcc, 0, v14, vcc
	s_cbranch_scc1 .LBB22_85
.LBB22_41:                              ; =>This Inner Loop Header: Depth=1
	v_cmp_gt_i64_e32 vcc, s[30:31], v[13:14]
	v_mov_b32_e32 v3, -1
	v_mov_b32_e32 v5, 0
	v_mov_b32_e32 v6, 0
	s_and_saveexec_b64 s[4:5], vcc
	s_cbranch_execz .LBB22_43
; %bb.42:                               ;   in Loop: Header=BB22_41 Depth=1
	global_load_dword v5, v[7:8], off glc slc
	global_load_dword v3, v[9:10], off glc slc
	global_load_dwordx2 v[31:32], v[11:12], off glc slc
	v_mov_b32_e32 v33, s29
	s_waitcnt vmcnt(2)
	v_ashrrev_i32_e32 v6, 31, v5
	v_lshlrev_b64 v[5:6], 3, v[5:6]
	s_waitcnt vmcnt(1)
	v_subrev_u32_e32 v3, s28, v3
	v_add_co_u32_e32 v5, vcc, s7, v5
	v_addc_co_u32_e32 v6, vcc, v33, v6, vcc
	global_load_dwordx2 v[33:34], v[5:6], off
	s_waitcnt vmcnt(0)
	v_mul_f32_e64 v5, v34, -v32
	v_mul_f32_e32 v6, v31, v34
	v_fmac_f32_e32 v5, v31, v33
	v_fmac_f32_e32 v6, v32, v33
.LBB22_43:                              ;   in Loop: Header=BB22_41 Depth=1
	s_or_b64 exec, exec, s[4:5]
	s_and_saveexec_b64 s[4:5], s[0:1]
	s_cbranch_execz .LBB22_50
; %bb.44:                               ;   in Loop: Header=BB22_41 Depth=1
	ds_read_b32 v31, v4 offset:3068
	s_waitcnt lgkmcnt(0)
	v_readfirstlane_b32 s36, v31
	v_cmp_ne_u32_e32 vcc, v3, v31
	s_and_saveexec_b64 s[38:39], vcc
	s_xor_b64 s[38:39], exec, s[38:39]
	s_cbranch_execz .LBB22_47
; %bb.45:                               ;   in Loop: Header=BB22_41 Depth=1
	s_cmp_lt_i32 s36, 0
	s_cbranch_scc1 .LBB22_47
; %bb.46:                               ;   in Loop: Header=BB22_41 Depth=1
	s_lshl_b64 s[40:41], s[36:37], 3
	s_add_u32 s40, s34, s40
	s_addc_u32 s41, s35, s41
	global_load_dwordx2 v[31:32], v4, s[40:41]
	ds_read_b64 v[33:34], v4 offset:2040
	s_waitcnt vmcnt(0) lgkmcnt(0)
	v_fma_f32 v31, v1, v33, v31
	v_fmac_f32_e32 v32, v2, v33
	v_fma_f32 v31, -v2, v34, v31
	v_fmac_f32_e32 v32, v1, v34
	global_store_dwordx2 v4, v[31:32], s[40:41]
.LBB22_47:                              ;   in Loop: Header=BB22_41 Depth=1
	s_andn2_saveexec_b64 s[38:39], s[38:39]
	s_cbranch_execz .LBB22_49
; %bb.48:                               ;   in Loop: Header=BB22_41 Depth=1
	ds_read_b64 v[31:32], v4 offset:2040
	s_waitcnt lgkmcnt(0)
	v_add_f32_e32 v5, v5, v31
	v_add_f32_e32 v6, v6, v32
.LBB22_49:                              ;   in Loop: Header=BB22_41 Depth=1
	s_or_b64 exec, exec, s[38:39]
.LBB22_50:                              ;   in Loop: Header=BB22_41 Depth=1
	s_or_b64 exec, exec, s[4:5]
	s_waitcnt vmcnt(0) lgkmcnt(0)
	s_barrier
	ds_write_b32 v15, v3
	ds_write_b64 v16, v[5:6]
	s_waitcnt lgkmcnt(0)
	s_barrier
	s_and_saveexec_b64 s[4:5], s[2:3]
	s_cbranch_execz .LBB22_54
; %bb.51:                               ;   in Loop: Header=BB22_41 Depth=1
	ds_read_b32 v31, v17
	s_waitcnt lgkmcnt(0)
	v_cmp_eq_u32_e32 vcc, v3, v31
	s_and_saveexec_b64 s[38:39], vcc
	s_cbranch_execz .LBB22_53
; %bb.52:                               ;   in Loop: Header=BB22_41 Depth=1
	v_add_u32_e32 v31, -8, v16
	ds_read_b64 v[31:32], v31
	s_waitcnt lgkmcnt(0)
	v_add_f32_e32 v5, v5, v31
	v_add_f32_e32 v6, v6, v32
.LBB22_53:                              ;   in Loop: Header=BB22_41 Depth=1
	s_or_b64 exec, exec, s[38:39]
.LBB22_54:                              ;   in Loop: Header=BB22_41 Depth=1
	s_or_b64 exec, exec, s[4:5]
	s_barrier
	ds_write_b64 v16, v[5:6]
	s_waitcnt lgkmcnt(0)
	s_barrier
	s_and_saveexec_b64 s[4:5], s[22:23]
	s_cbranch_execz .LBB22_58
; %bb.55:                               ;   in Loop: Header=BB22_41 Depth=1
	ds_read_b32 v31, v18
	s_waitcnt lgkmcnt(0)
	v_cmp_eq_u32_e32 vcc, v3, v31
	s_and_saveexec_b64 s[38:39], vcc
	s_cbranch_execz .LBB22_57
; %bb.56:                               ;   in Loop: Header=BB22_41 Depth=1
	v_add_u32_e32 v31, -16, v16
	ds_read_b64 v[31:32], v31
	s_waitcnt lgkmcnt(0)
	v_add_f32_e32 v5, v5, v31
	v_add_f32_e32 v6, v6, v32
.LBB22_57:                              ;   in Loop: Header=BB22_41 Depth=1
	s_or_b64 exec, exec, s[38:39]
.LBB22_58:                              ;   in Loop: Header=BB22_41 Depth=1
	s_or_b64 exec, exec, s[4:5]
	s_barrier
	ds_write_b64 v16, v[5:6]
	s_waitcnt lgkmcnt(0)
	s_barrier
	s_and_saveexec_b64 s[4:5], s[8:9]
	s_cbranch_execz .LBB22_62
; %bb.59:                               ;   in Loop: Header=BB22_41 Depth=1
	ds_read_b32 v31, v19
	s_waitcnt lgkmcnt(0)
	v_cmp_eq_u32_e32 vcc, v3, v31
	s_and_saveexec_b64 s[38:39], vcc
	s_cbranch_execz .LBB22_61
; %bb.60:                               ;   in Loop: Header=BB22_41 Depth=1
	ds_read_b64 v[31:32], v22
	s_waitcnt lgkmcnt(0)
	v_add_f32_e32 v5, v5, v31
	v_add_f32_e32 v6, v6, v32
.LBB22_61:                              ;   in Loop: Header=BB22_41 Depth=1
	s_or_b64 exec, exec, s[38:39]
.LBB22_62:                              ;   in Loop: Header=BB22_41 Depth=1
	s_or_b64 exec, exec, s[4:5]
	s_barrier
	ds_write_b64 v16, v[5:6]
	s_waitcnt lgkmcnt(0)
	s_barrier
	s_and_saveexec_b64 s[4:5], s[10:11]
	s_cbranch_execz .LBB22_66
; %bb.63:                               ;   in Loop: Header=BB22_41 Depth=1
	ds_read_b32 v31, v20
	s_waitcnt lgkmcnt(0)
	v_cmp_eq_u32_e32 vcc, v3, v31
	s_and_saveexec_b64 s[38:39], vcc
	s_cbranch_execz .LBB22_65
; %bb.64:                               ;   in Loop: Header=BB22_41 Depth=1
	ds_read_b64 v[31:32], v23
	s_waitcnt lgkmcnt(0)
	v_add_f32_e32 v5, v5, v31
	v_add_f32_e32 v6, v6, v32
.LBB22_65:                              ;   in Loop: Header=BB22_41 Depth=1
	s_or_b64 exec, exec, s[38:39]
.LBB22_66:                              ;   in Loop: Header=BB22_41 Depth=1
	;; [unrolled: 21-line block ×6, first 2 shown]
	s_or_b64 exec, exec, s[4:5]
	s_barrier
	ds_write_b64 v16, v[5:6]
	s_waitcnt lgkmcnt(0)
	s_barrier
	s_and_saveexec_b64 s[38:39], s[20:21]
	s_cbranch_execz .LBB22_40
; %bb.83:                               ;   in Loop: Header=BB22_41 Depth=1
	ds_read_b32 v31, v15 offset:4
	v_cmp_lt_i32_e64 s[4:5], -1, v3
	s_waitcnt lgkmcnt(0)
	v_cmp_ne_u32_e32 vcc, v3, v31
	s_and_b64 s[4:5], s[4:5], vcc
	s_and_b64 exec, exec, s[4:5]
	s_cbranch_execz .LBB22_40
; %bb.84:                               ;   in Loop: Header=BB22_41 Depth=1
	v_lshlrev_b64 v[31:32], 3, v[3:4]
	v_mov_b32_e32 v33, s35
	v_add_co_u32_e32 v31, vcc, s34, v31
	v_addc_co_u32_e32 v32, vcc, v33, v32, vcc
	global_load_dwordx2 v[33:34], v[31:32], off
	s_waitcnt vmcnt(0)
	v_fma_f32 v33, v1, v5, v33
	v_fmac_f32_e32 v34, v2, v5
	v_fma_f32 v33, -v2, v6, v33
	v_fmac_f32_e32 v34, v1, v6
	global_store_dwordx2 v[31:32], v[33:34], off
	s_branch .LBB22_40
.LBB22_85:
	s_movk_i32 s0, 0xff
	v_cmp_eq_u32_e32 vcc, s0, v0
	s_and_b64 exec, exec, vcc
	s_cbranch_execz .LBB22_87
; %bb.86:
	s_mov_b32 s7, 0
	s_lshl_b64 s[0:1], s[6:7], 3
	s_waitcnt lgkmcnt(0)
	s_add_u32 s0, s26, s0
	s_addc_u32 s1, s27, s1
	s_lshl_b64 s[2:3], s[6:7], 2
	s_add_u32 s2, s24, s2
	v_mov_b32_e32 v0, 0
	v_mul_f32_e32 v7, v1, v6
	v_mul_f32_e64 v6, v6, -v2
	s_addc_u32 s3, s25, s3
	v_fmac_f32_e32 v7, v2, v5
	v_fmac_f32_e32 v6, v1, v5
	global_store_dword v0, v3, s[2:3] glc slc
	global_store_dwordx2 v0, v[6:7], s[0:1] glc slc
.LBB22_87:
	s_endpgm
	.section	.rodata,"a",@progbits
	.p2align	6, 0x0
	.amdhsa_kernel _ZN9rocsparseL22coomvn_segmented_loopsILj256Ei21rocsparse_complex_numIfES2_S2_S2_EEvlT0_NS_24const_host_device_scalarIT4_EEPKS3_S8_PKT1_PKT2_PT3_PS3_PS5_21rocsparse_index_base_b
		.amdhsa_group_segment_fixed_size 3072
		.amdhsa_private_segment_fixed_size 0
		.amdhsa_kernarg_size 88
		.amdhsa_user_sgpr_count 6
		.amdhsa_user_sgpr_private_segment_buffer 1
		.amdhsa_user_sgpr_dispatch_ptr 0
		.amdhsa_user_sgpr_queue_ptr 0
		.amdhsa_user_sgpr_kernarg_segment_ptr 1
		.amdhsa_user_sgpr_dispatch_id 0
		.amdhsa_user_sgpr_flat_scratch_init 0
		.amdhsa_user_sgpr_private_segment_size 0
		.amdhsa_uses_dynamic_stack 0
		.amdhsa_system_sgpr_private_segment_wavefront_offset 0
		.amdhsa_system_sgpr_workgroup_id_x 1
		.amdhsa_system_sgpr_workgroup_id_y 0
		.amdhsa_system_sgpr_workgroup_id_z 0
		.amdhsa_system_sgpr_workgroup_info 0
		.amdhsa_system_vgpr_workitem_id 0
		.amdhsa_next_free_vgpr 35
		.amdhsa_next_free_sgpr 44
		.amdhsa_reserve_vcc 1
		.amdhsa_reserve_flat_scratch 0
		.amdhsa_float_round_mode_32 0
		.amdhsa_float_round_mode_16_64 0
		.amdhsa_float_denorm_mode_32 3
		.amdhsa_float_denorm_mode_16_64 3
		.amdhsa_dx10_clamp 1
		.amdhsa_ieee_mode 1
		.amdhsa_fp16_overflow 0
		.amdhsa_exception_fp_ieee_invalid_op 0
		.amdhsa_exception_fp_denorm_src 0
		.amdhsa_exception_fp_ieee_div_zero 0
		.amdhsa_exception_fp_ieee_overflow 0
		.amdhsa_exception_fp_ieee_underflow 0
		.amdhsa_exception_fp_ieee_inexact 0
		.amdhsa_exception_int_div_zero 0
	.end_amdhsa_kernel
	.section	.text._ZN9rocsparseL22coomvn_segmented_loopsILj256Ei21rocsparse_complex_numIfES2_S2_S2_EEvlT0_NS_24const_host_device_scalarIT4_EEPKS3_S8_PKT1_PKT2_PT3_PS3_PS5_21rocsparse_index_base_b,"axG",@progbits,_ZN9rocsparseL22coomvn_segmented_loopsILj256Ei21rocsparse_complex_numIfES2_S2_S2_EEvlT0_NS_24const_host_device_scalarIT4_EEPKS3_S8_PKT1_PKT2_PT3_PS3_PS5_21rocsparse_index_base_b,comdat
.Lfunc_end22:
	.size	_ZN9rocsparseL22coomvn_segmented_loopsILj256Ei21rocsparse_complex_numIfES2_S2_S2_EEvlT0_NS_24const_host_device_scalarIT4_EEPKS3_S8_PKT1_PKT2_PT3_PS3_PS5_21rocsparse_index_base_b, .Lfunc_end22-_ZN9rocsparseL22coomvn_segmented_loopsILj256Ei21rocsparse_complex_numIfES2_S2_S2_EEvlT0_NS_24const_host_device_scalarIT4_EEPKS3_S8_PKT1_PKT2_PT3_PS3_PS5_21rocsparse_index_base_b
                                        ; -- End function
	.set _ZN9rocsparseL22coomvn_segmented_loopsILj256Ei21rocsparse_complex_numIfES2_S2_S2_EEvlT0_NS_24const_host_device_scalarIT4_EEPKS3_S8_PKT1_PKT2_PT3_PS3_PS5_21rocsparse_index_base_b.num_vgpr, 35
	.set _ZN9rocsparseL22coomvn_segmented_loopsILj256Ei21rocsparse_complex_numIfES2_S2_S2_EEvlT0_NS_24const_host_device_scalarIT4_EEPKS3_S8_PKT1_PKT2_PT3_PS3_PS5_21rocsparse_index_base_b.num_agpr, 0
	.set _ZN9rocsparseL22coomvn_segmented_loopsILj256Ei21rocsparse_complex_numIfES2_S2_S2_EEvlT0_NS_24const_host_device_scalarIT4_EEPKS3_S8_PKT1_PKT2_PT3_PS3_PS5_21rocsparse_index_base_b.numbered_sgpr, 44
	.set _ZN9rocsparseL22coomvn_segmented_loopsILj256Ei21rocsparse_complex_numIfES2_S2_S2_EEvlT0_NS_24const_host_device_scalarIT4_EEPKS3_S8_PKT1_PKT2_PT3_PS3_PS5_21rocsparse_index_base_b.num_named_barrier, 0
	.set _ZN9rocsparseL22coomvn_segmented_loopsILj256Ei21rocsparse_complex_numIfES2_S2_S2_EEvlT0_NS_24const_host_device_scalarIT4_EEPKS3_S8_PKT1_PKT2_PT3_PS3_PS5_21rocsparse_index_base_b.private_seg_size, 0
	.set _ZN9rocsparseL22coomvn_segmented_loopsILj256Ei21rocsparse_complex_numIfES2_S2_S2_EEvlT0_NS_24const_host_device_scalarIT4_EEPKS3_S8_PKT1_PKT2_PT3_PS3_PS5_21rocsparse_index_base_b.uses_vcc, 1
	.set _ZN9rocsparseL22coomvn_segmented_loopsILj256Ei21rocsparse_complex_numIfES2_S2_S2_EEvlT0_NS_24const_host_device_scalarIT4_EEPKS3_S8_PKT1_PKT2_PT3_PS3_PS5_21rocsparse_index_base_b.uses_flat_scratch, 0
	.set _ZN9rocsparseL22coomvn_segmented_loopsILj256Ei21rocsparse_complex_numIfES2_S2_S2_EEvlT0_NS_24const_host_device_scalarIT4_EEPKS3_S8_PKT1_PKT2_PT3_PS3_PS5_21rocsparse_index_base_b.has_dyn_sized_stack, 0
	.set _ZN9rocsparseL22coomvn_segmented_loopsILj256Ei21rocsparse_complex_numIfES2_S2_S2_EEvlT0_NS_24const_host_device_scalarIT4_EEPKS3_S8_PKT1_PKT2_PT3_PS3_PS5_21rocsparse_index_base_b.has_recursion, 0
	.set _ZN9rocsparseL22coomvn_segmented_loopsILj256Ei21rocsparse_complex_numIfES2_S2_S2_EEvlT0_NS_24const_host_device_scalarIT4_EEPKS3_S8_PKT1_PKT2_PT3_PS3_PS5_21rocsparse_index_base_b.has_indirect_call, 0
	.section	.AMDGPU.csdata,"",@progbits
; Kernel info:
; codeLenInByte = 2712
; TotalNumSgprs: 48
; NumVgprs: 35
; ScratchSize: 0
; MemoryBound: 0
; FloatMode: 240
; IeeeMode: 1
; LDSByteSize: 3072 bytes/workgroup (compile time only)
; SGPRBlocks: 5
; VGPRBlocks: 8
; NumSGPRsForWavesPerEU: 48
; NumVGPRsForWavesPerEU: 35
; Occupancy: 7
; WaveLimiterHint : 1
; COMPUTE_PGM_RSRC2:SCRATCH_EN: 0
; COMPUTE_PGM_RSRC2:USER_SGPR: 6
; COMPUTE_PGM_RSRC2:TRAP_HANDLER: 0
; COMPUTE_PGM_RSRC2:TGID_X_EN: 1
; COMPUTE_PGM_RSRC2:TGID_Y_EN: 0
; COMPUTE_PGM_RSRC2:TGID_Z_EN: 0
; COMPUTE_PGM_RSRC2:TIDIG_COMP_CNT: 0
	.section	.text._ZN9rocsparseL29coomvn_segmented_loops_reduceILj256Ei21rocsparse_complex_numIfES2_EEvT0_NS_24const_host_device_scalarIT2_EEPKS3_PKS5_PT1_b,"axG",@progbits,_ZN9rocsparseL29coomvn_segmented_loops_reduceILj256Ei21rocsparse_complex_numIfES2_EEvT0_NS_24const_host_device_scalarIT2_EEPKS3_PKS5_PT1_b,comdat
	.globl	_ZN9rocsparseL29coomvn_segmented_loops_reduceILj256Ei21rocsparse_complex_numIfES2_EEvT0_NS_24const_host_device_scalarIT2_EEPKS3_PKS5_PT1_b ; -- Begin function _ZN9rocsparseL29coomvn_segmented_loops_reduceILj256Ei21rocsparse_complex_numIfES2_EEvT0_NS_24const_host_device_scalarIT2_EEPKS3_PKS5_PT1_b
	.p2align	8
	.type	_ZN9rocsparseL29coomvn_segmented_loops_reduceILj256Ei21rocsparse_complex_numIfES2_EEvT0_NS_24const_host_device_scalarIT2_EEPKS3_PKS5_PT1_b,@function
_ZN9rocsparseL29coomvn_segmented_loops_reduceILj256Ei21rocsparse_complex_numIfES2_EEvT0_NS_24const_host_device_scalarIT2_EEPKS3_PKS5_PT1_b: ; @_ZN9rocsparseL29coomvn_segmented_loops_reduceILj256Ei21rocsparse_complex_numIfES2_EEvT0_NS_24const_host_device_scalarIT2_EEPKS3_PKS5_PT1_b
; %bb.0:
	s_load_dword s2, s[4:5], 0x28
	s_load_dwordx2 s[0:1], s[4:5], 0x8
	s_add_u32 s3, s4, 8
	s_addc_u32 s6, s5, 0
	s_waitcnt lgkmcnt(0)
	s_bitcmp1_b32 s2, 0
	s_cselect_b32 s1, s6, s1
	s_cselect_b32 s0, s3, s0
	v_mov_b32_e32 v1, s0
	v_mov_b32_e32 v2, s1
	flat_load_dwordx2 v[1:2], v[1:2]
	s_waitcnt vmcnt(0) lgkmcnt(0)
	v_cmp_neq_f32_e32 vcc, 0, v1
	v_cmp_neq_f32_e64 s[0:1], 0, v2
	s_or_b64 s[0:1], vcc, s[0:1]
	s_and_saveexec_b64 s[2:3], s[0:1]
	s_cbranch_execz .LBB23_42
; %bb.1:
	s_load_dword s28, s[4:5], 0x0
	s_waitcnt lgkmcnt(0)
	s_cmp_lt_i32 s28, 1
	s_cbranch_scc1 .LBB23_42
; %bb.2:
	v_mov_b32_e32 v1, 0x800
	v_subrev_co_u32_e32 v2, vcc, 1, v0
	s_load_dwordx4 s[8:11], s[4:5], 0x10
	s_load_dwordx2 s[6:7], s[4:5], 0x20
	s_xor_b64 s[4:5], vcc, -1
	v_lshl_add_u32 v9, v2, 2, v1
	v_subrev_co_u32_e32 v2, vcc, 2, v0
	s_xor_b64 s[12:13], vcc, -1
	v_lshl_add_u32 v10, v2, 2, v1
	v_subrev_co_u32_e32 v2, vcc, 4, v0
	;; [unrolled: 3-line block ×6, first 2 shown]
	s_movk_i32 s0, 0x80
	v_lshlrev_b32_e32 v8, 3, v0
	s_xor_b64 s[22:23], vcc, -1
	v_lshl_add_u32 v18, v2, 2, v1
	v_subrev_co_u32_e32 v2, vcc, s0, v0
	s_movk_i32 s0, 0xff
	v_lshl_or_b32 v7, v0, 2, v1
	v_subrev_u32_e32 v13, 64, v8
	v_add_u32_e32 v15, 0xffffff80, v8
	v_add_u32_e32 v17, 0xffffff00, v8
	;; [unrolled: 1-line block ×3, first 2 shown]
	s_xor_b64 s[24:25], vcc, -1
	v_lshl_add_u32 v20, v2, 2, v1
	v_add_u32_e32 v21, 0xfffffc00, v8
	v_cmp_gt_u32_e32 vcc, s0, v0
	s_mov_b32 s29, 0
	v_mov_b32_e32 v2, 0
	s_branch .LBB23_4
.LBB23_3:                               ;   in Loop: Header=BB23_4 Depth=1
	s_or_b64 exec, exec, s[2:3]
	s_addk_i32 s29, 0x100
	s_cmp_lt_i32 s29, s28
	s_waitcnt vmcnt(0)
	s_barrier
	s_cbranch_scc0 .LBB23_42
.LBB23_4:                               ; =>This Inner Loop Header: Depth=1
	v_add_u32_e32 v5, s29, v0
	v_cmp_gt_i32_e64 s[0:1], s28, v5
	v_mov_b32_e32 v1, -1
	v_mov_b32_e32 v4, 0
	v_mov_b32_e32 v3, 0
	s_and_saveexec_b64 s[2:3], s[0:1]
	s_cbranch_execz .LBB23_6
; %bb.5:                                ;   in Loop: Header=BB23_4 Depth=1
	v_ashrrev_i32_e32 v6, 31, v5
	v_lshlrev_b64 v[3:4], 3, v[5:6]
	s_waitcnt lgkmcnt(0)
	v_mov_b32_e32 v1, s11
	v_add_co_u32_e64 v22, s[0:1], s10, v3
	v_addc_co_u32_e64 v23, s[0:1], v1, v4, s[0:1]
	v_lshlrev_b64 v[3:4], 2, v[5:6]
	v_mov_b32_e32 v1, s9
	v_add_co_u32_e64 v5, s[0:1], s8, v3
	v_addc_co_u32_e64 v6, s[0:1], v1, v4, s[0:1]
	global_load_dword v1, v[5:6], off
	global_load_dwordx2 v[3:4], v[22:23], off
.LBB23_6:                               ;   in Loop: Header=BB23_4 Depth=1
	s_or_b64 exec, exec, s[2:3]
	s_waitcnt vmcnt(1)
	ds_write_b32 v7, v1
	s_waitcnt vmcnt(0)
	ds_write_b64 v8, v[3:4]
	v_mov_b32_e32 v4, 0
	v_mov_b32_e32 v6, 0
	;; [unrolled: 1-line block ×3, first 2 shown]
	s_waitcnt lgkmcnt(0)
	s_barrier
	s_and_saveexec_b64 s[2:3], s[4:5]
	s_cbranch_execz .LBB23_10
; %bb.7:                                ;   in Loop: Header=BB23_4 Depth=1
	ds_read2_b32 v[22:23], v9 offset1:1
	v_mov_b32_e32 v5, 0
	v_mov_b32_e32 v6, 0
	s_waitcnt lgkmcnt(0)
	v_cmp_eq_u32_e64 s[0:1], v23, v22
	s_and_saveexec_b64 s[26:27], s[0:1]
; %bb.8:                                ;   in Loop: Header=BB23_4 Depth=1
	v_add_u32_e32 v1, -8, v8
	ds_read_b64 v[5:6], v1
; %bb.9:                                ;   in Loop: Header=BB23_4 Depth=1
	s_or_b64 exec, exec, s[26:27]
.LBB23_10:                              ;   in Loop: Header=BB23_4 Depth=1
	s_or_b64 exec, exec, s[2:3]
	s_waitcnt lgkmcnt(0)
	s_barrier
	ds_read_b64 v[22:23], v8
	v_mov_b32_e32 v3, 0
	s_waitcnt lgkmcnt(0)
	v_add_f32_e32 v5, v5, v22
	v_add_f32_e32 v6, v6, v23
	ds_write_b64 v8, v[5:6]
	s_waitcnt lgkmcnt(0)
	s_barrier
	s_and_saveexec_b64 s[2:3], s[12:13]
	s_cbranch_execz .LBB23_14
; %bb.11:                               ;   in Loop: Header=BB23_4 Depth=1
	ds_read_b32 v1, v7
	ds_read_b32 v4, v10
	v_mov_b32_e32 v3, 0
	s_waitcnt lgkmcnt(0)
	v_cmp_eq_u32_e64 s[0:1], v1, v4
	v_mov_b32_e32 v4, 0
	s_and_saveexec_b64 s[26:27], s[0:1]
; %bb.12:                               ;   in Loop: Header=BB23_4 Depth=1
	v_add_u32_e32 v1, -16, v8
	ds_read_b64 v[3:4], v1
; %bb.13:                               ;   in Loop: Header=BB23_4 Depth=1
	s_or_b64 exec, exec, s[26:27]
.LBB23_14:                              ;   in Loop: Header=BB23_4 Depth=1
	s_or_b64 exec, exec, s[2:3]
	s_waitcnt lgkmcnt(0)
	s_barrier
	ds_read_b64 v[5:6], v8
	s_waitcnt lgkmcnt(0)
	v_add_f32_e32 v3, v3, v5
	v_add_f32_e32 v4, v4, v6
	ds_write_b64 v8, v[3:4]
	v_mov_b32_e32 v4, 0
	v_mov_b32_e32 v6, 0
	;; [unrolled: 1-line block ×3, first 2 shown]
	s_waitcnt lgkmcnt(0)
	s_barrier
	s_and_saveexec_b64 s[2:3], s[14:15]
	s_cbranch_execz .LBB23_18
; %bb.15:                               ;   in Loop: Header=BB23_4 Depth=1
	ds_read_b32 v1, v7
	ds_read_b32 v3, v11
	v_mov_b32_e32 v5, 0
	v_mov_b32_e32 v6, 0
	s_waitcnt lgkmcnt(0)
	v_cmp_eq_u32_e64 s[0:1], v1, v3
	s_and_saveexec_b64 s[26:27], s[0:1]
; %bb.16:                               ;   in Loop: Header=BB23_4 Depth=1
	v_subrev_u32_e32 v1, 32, v8
	ds_read_b64 v[5:6], v1
; %bb.17:                               ;   in Loop: Header=BB23_4 Depth=1
	s_or_b64 exec, exec, s[26:27]
.LBB23_18:                              ;   in Loop: Header=BB23_4 Depth=1
	s_or_b64 exec, exec, s[2:3]
	s_waitcnt lgkmcnt(0)
	s_barrier
	ds_read_b64 v[22:23], v8
	v_mov_b32_e32 v3, 0
	s_waitcnt lgkmcnt(0)
	v_add_f32_e32 v5, v5, v22
	v_add_f32_e32 v6, v6, v23
	ds_write_b64 v8, v[5:6]
	s_waitcnt lgkmcnt(0)
	s_barrier
	s_and_saveexec_b64 s[2:3], s[16:17]
	s_cbranch_execz .LBB23_22
; %bb.19:                               ;   in Loop: Header=BB23_4 Depth=1
	ds_read_b32 v1, v7
	ds_read_b32 v4, v12
	v_mov_b32_e32 v3, 0
	s_waitcnt lgkmcnt(0)
	v_cmp_eq_u32_e64 s[0:1], v1, v4
	v_mov_b32_e32 v4, 0
	s_and_saveexec_b64 s[26:27], s[0:1]
; %bb.20:                               ;   in Loop: Header=BB23_4 Depth=1
	ds_read_b64 v[3:4], v13
; %bb.21:                               ;   in Loop: Header=BB23_4 Depth=1
	s_or_b64 exec, exec, s[26:27]
.LBB23_22:                              ;   in Loop: Header=BB23_4 Depth=1
	s_or_b64 exec, exec, s[2:3]
	s_waitcnt lgkmcnt(0)
	s_barrier
	ds_read_b64 v[5:6], v8
	s_waitcnt lgkmcnt(0)
	v_add_f32_e32 v3, v3, v5
	v_add_f32_e32 v4, v4, v6
	ds_write_b64 v8, v[3:4]
	v_mov_b32_e32 v4, 0
	v_mov_b32_e32 v6, 0
	;; [unrolled: 1-line block ×3, first 2 shown]
	s_waitcnt lgkmcnt(0)
	s_barrier
	s_and_saveexec_b64 s[2:3], s[18:19]
	s_cbranch_execz .LBB23_26
; %bb.23:                               ;   in Loop: Header=BB23_4 Depth=1
	ds_read_b32 v1, v7
	ds_read_b32 v3, v14
	v_mov_b32_e32 v5, 0
	v_mov_b32_e32 v6, 0
	s_waitcnt lgkmcnt(0)
	v_cmp_eq_u32_e64 s[0:1], v1, v3
	s_and_saveexec_b64 s[26:27], s[0:1]
; %bb.24:                               ;   in Loop: Header=BB23_4 Depth=1
	ds_read_b64 v[5:6], v15
; %bb.25:                               ;   in Loop: Header=BB23_4 Depth=1
	s_or_b64 exec, exec, s[26:27]
.LBB23_26:                              ;   in Loop: Header=BB23_4 Depth=1
	s_or_b64 exec, exec, s[2:3]
	s_waitcnt lgkmcnt(0)
	s_barrier
	ds_read_b64 v[22:23], v8
	v_mov_b32_e32 v3, 0
	s_waitcnt lgkmcnt(0)
	v_add_f32_e32 v5, v5, v22
	v_add_f32_e32 v6, v6, v23
	ds_write_b64 v8, v[5:6]
	s_waitcnt lgkmcnt(0)
	s_barrier
	s_and_saveexec_b64 s[2:3], s[20:21]
	s_cbranch_execz .LBB23_30
; %bb.27:                               ;   in Loop: Header=BB23_4 Depth=1
	ds_read_b32 v1, v7
	ds_read_b32 v4, v16
	v_mov_b32_e32 v3, 0
	s_waitcnt lgkmcnt(0)
	v_cmp_eq_u32_e64 s[0:1], v1, v4
	v_mov_b32_e32 v4, 0
	s_and_saveexec_b64 s[26:27], s[0:1]
; %bb.28:                               ;   in Loop: Header=BB23_4 Depth=1
	ds_read_b64 v[3:4], v17
; %bb.29:                               ;   in Loop: Header=BB23_4 Depth=1
	s_or_b64 exec, exec, s[26:27]
.LBB23_30:                              ;   in Loop: Header=BB23_4 Depth=1
	s_or_b64 exec, exec, s[2:3]
	s_waitcnt lgkmcnt(0)
	s_barrier
	ds_read_b64 v[5:6], v8
	s_waitcnt lgkmcnt(0)
	v_add_f32_e32 v3, v3, v5
	v_add_f32_e32 v4, v4, v6
	ds_write_b64 v8, v[3:4]
	v_mov_b32_e32 v4, 0
	v_mov_b32_e32 v6, 0
	;; [unrolled: 1-line block ×3, first 2 shown]
	s_waitcnt lgkmcnt(0)
	s_barrier
	s_and_saveexec_b64 s[2:3], s[22:23]
	s_cbranch_execz .LBB23_34
; %bb.31:                               ;   in Loop: Header=BB23_4 Depth=1
	ds_read_b32 v1, v7
	ds_read_b32 v3, v18
	v_mov_b32_e32 v5, 0
	v_mov_b32_e32 v6, 0
	s_waitcnt lgkmcnt(0)
	v_cmp_eq_u32_e64 s[0:1], v1, v3
	s_and_saveexec_b64 s[26:27], s[0:1]
; %bb.32:                               ;   in Loop: Header=BB23_4 Depth=1
	ds_read_b64 v[5:6], v19
; %bb.33:                               ;   in Loop: Header=BB23_4 Depth=1
	s_or_b64 exec, exec, s[26:27]
.LBB23_34:                              ;   in Loop: Header=BB23_4 Depth=1
	s_or_b64 exec, exec, s[2:3]
	s_waitcnt lgkmcnt(0)
	s_barrier
	ds_read_b64 v[22:23], v8
	v_mov_b32_e32 v3, 0
	s_waitcnt lgkmcnt(0)
	v_add_f32_e32 v5, v5, v22
	v_add_f32_e32 v6, v6, v23
	ds_write_b64 v8, v[5:6]
	s_waitcnt lgkmcnt(0)
	s_barrier
	s_and_saveexec_b64 s[2:3], s[24:25]
	s_cbranch_execz .LBB23_38
; %bb.35:                               ;   in Loop: Header=BB23_4 Depth=1
	ds_read_b32 v1, v7
	ds_read_b32 v4, v20
	v_mov_b32_e32 v3, 0
	s_waitcnt lgkmcnt(0)
	v_cmp_eq_u32_e64 s[0:1], v1, v4
	v_mov_b32_e32 v4, 0
	s_and_saveexec_b64 s[26:27], s[0:1]
; %bb.36:                               ;   in Loop: Header=BB23_4 Depth=1
	ds_read_b64 v[3:4], v21
; %bb.37:                               ;   in Loop: Header=BB23_4 Depth=1
	s_or_b64 exec, exec, s[26:27]
.LBB23_38:                              ;   in Loop: Header=BB23_4 Depth=1
	s_or_b64 exec, exec, s[2:3]
	s_waitcnt lgkmcnt(0)
	s_barrier
	ds_read_b64 v[5:6], v8
	s_waitcnt lgkmcnt(0)
	v_add_f32_e32 v3, v3, v5
	v_add_f32_e32 v4, v4, v6
	ds_write_b64 v8, v[3:4]
	s_waitcnt lgkmcnt(0)
	s_barrier
	ds_read_b32 v1, v7
	v_mov_b32_e32 v3, -1
	s_and_saveexec_b64 s[0:1], vcc
; %bb.39:                               ;   in Loop: Header=BB23_4 Depth=1
	ds_read_b32 v3, v7 offset:4
; %bb.40:                               ;   in Loop: Header=BB23_4 Depth=1
	s_or_b64 exec, exec, s[0:1]
	s_waitcnt lgkmcnt(0)
	v_cmp_ne_u32_e64 s[0:1], v1, v3
	v_cmp_lt_i32_e64 s[2:3], -1, v1
	s_and_b64 s[0:1], s[2:3], s[0:1]
	s_and_saveexec_b64 s[2:3], s[0:1]
	s_cbranch_execz .LBB23_3
; %bb.41:                               ;   in Loop: Header=BB23_4 Depth=1
	v_lshlrev_b64 v[3:4], 3, v[1:2]
	v_mov_b32_e32 v1, s7
	v_add_co_u32_e64 v3, s[0:1], s6, v3
	v_addc_co_u32_e64 v4, s[0:1], v1, v4, s[0:1]
	global_load_dwordx2 v[5:6], v[3:4], off
	ds_read_b64 v[22:23], v8
	s_waitcnt vmcnt(0) lgkmcnt(0)
	v_add_f32_e32 v5, v22, v5
	v_add_f32_e32 v6, v23, v6
	global_store_dwordx2 v[3:4], v[5:6], off
	s_branch .LBB23_3
.LBB23_42:
	s_endpgm
	.section	.rodata,"a",@progbits
	.p2align	6, 0x0
	.amdhsa_kernel _ZN9rocsparseL29coomvn_segmented_loops_reduceILj256Ei21rocsparse_complex_numIfES2_EEvT0_NS_24const_host_device_scalarIT2_EEPKS3_PKS5_PT1_b
		.amdhsa_group_segment_fixed_size 3072
		.amdhsa_private_segment_fixed_size 0
		.amdhsa_kernarg_size 44
		.amdhsa_user_sgpr_count 6
		.amdhsa_user_sgpr_private_segment_buffer 1
		.amdhsa_user_sgpr_dispatch_ptr 0
		.amdhsa_user_sgpr_queue_ptr 0
		.amdhsa_user_sgpr_kernarg_segment_ptr 1
		.amdhsa_user_sgpr_dispatch_id 0
		.amdhsa_user_sgpr_flat_scratch_init 0
		.amdhsa_user_sgpr_private_segment_size 0
		.amdhsa_uses_dynamic_stack 0
		.amdhsa_system_sgpr_private_segment_wavefront_offset 0
		.amdhsa_system_sgpr_workgroup_id_x 1
		.amdhsa_system_sgpr_workgroup_id_y 0
		.amdhsa_system_sgpr_workgroup_id_z 0
		.amdhsa_system_sgpr_workgroup_info 0
		.amdhsa_system_vgpr_workitem_id 0
		.amdhsa_next_free_vgpr 24
		.amdhsa_next_free_sgpr 30
		.amdhsa_reserve_vcc 1
		.amdhsa_reserve_flat_scratch 0
		.amdhsa_float_round_mode_32 0
		.amdhsa_float_round_mode_16_64 0
		.amdhsa_float_denorm_mode_32 3
		.amdhsa_float_denorm_mode_16_64 3
		.amdhsa_dx10_clamp 1
		.amdhsa_ieee_mode 1
		.amdhsa_fp16_overflow 0
		.amdhsa_exception_fp_ieee_invalid_op 0
		.amdhsa_exception_fp_denorm_src 0
		.amdhsa_exception_fp_ieee_div_zero 0
		.amdhsa_exception_fp_ieee_overflow 0
		.amdhsa_exception_fp_ieee_underflow 0
		.amdhsa_exception_fp_ieee_inexact 0
		.amdhsa_exception_int_div_zero 0
	.end_amdhsa_kernel
	.section	.text._ZN9rocsparseL29coomvn_segmented_loops_reduceILj256Ei21rocsparse_complex_numIfES2_EEvT0_NS_24const_host_device_scalarIT2_EEPKS3_PKS5_PT1_b,"axG",@progbits,_ZN9rocsparseL29coomvn_segmented_loops_reduceILj256Ei21rocsparse_complex_numIfES2_EEvT0_NS_24const_host_device_scalarIT2_EEPKS3_PKS5_PT1_b,comdat
.Lfunc_end23:
	.size	_ZN9rocsparseL29coomvn_segmented_loops_reduceILj256Ei21rocsparse_complex_numIfES2_EEvT0_NS_24const_host_device_scalarIT2_EEPKS3_PKS5_PT1_b, .Lfunc_end23-_ZN9rocsparseL29coomvn_segmented_loops_reduceILj256Ei21rocsparse_complex_numIfES2_EEvT0_NS_24const_host_device_scalarIT2_EEPKS3_PKS5_PT1_b
                                        ; -- End function
	.set _ZN9rocsparseL29coomvn_segmented_loops_reduceILj256Ei21rocsparse_complex_numIfES2_EEvT0_NS_24const_host_device_scalarIT2_EEPKS3_PKS5_PT1_b.num_vgpr, 24
	.set _ZN9rocsparseL29coomvn_segmented_loops_reduceILj256Ei21rocsparse_complex_numIfES2_EEvT0_NS_24const_host_device_scalarIT2_EEPKS3_PKS5_PT1_b.num_agpr, 0
	.set _ZN9rocsparseL29coomvn_segmented_loops_reduceILj256Ei21rocsparse_complex_numIfES2_EEvT0_NS_24const_host_device_scalarIT2_EEPKS3_PKS5_PT1_b.numbered_sgpr, 30
	.set _ZN9rocsparseL29coomvn_segmented_loops_reduceILj256Ei21rocsparse_complex_numIfES2_EEvT0_NS_24const_host_device_scalarIT2_EEPKS3_PKS5_PT1_b.num_named_barrier, 0
	.set _ZN9rocsparseL29coomvn_segmented_loops_reduceILj256Ei21rocsparse_complex_numIfES2_EEvT0_NS_24const_host_device_scalarIT2_EEPKS3_PKS5_PT1_b.private_seg_size, 0
	.set _ZN9rocsparseL29coomvn_segmented_loops_reduceILj256Ei21rocsparse_complex_numIfES2_EEvT0_NS_24const_host_device_scalarIT2_EEPKS3_PKS5_PT1_b.uses_vcc, 1
	.set _ZN9rocsparseL29coomvn_segmented_loops_reduceILj256Ei21rocsparse_complex_numIfES2_EEvT0_NS_24const_host_device_scalarIT2_EEPKS3_PKS5_PT1_b.uses_flat_scratch, 0
	.set _ZN9rocsparseL29coomvn_segmented_loops_reduceILj256Ei21rocsparse_complex_numIfES2_EEvT0_NS_24const_host_device_scalarIT2_EEPKS3_PKS5_PT1_b.has_dyn_sized_stack, 0
	.set _ZN9rocsparseL29coomvn_segmented_loops_reduceILj256Ei21rocsparse_complex_numIfES2_EEvT0_NS_24const_host_device_scalarIT2_EEPKS3_PKS5_PT1_b.has_recursion, 0
	.set _ZN9rocsparseL29coomvn_segmented_loops_reduceILj256Ei21rocsparse_complex_numIfES2_EEvT0_NS_24const_host_device_scalarIT2_EEPKS3_PKS5_PT1_b.has_indirect_call, 0
	.section	.AMDGPU.csdata,"",@progbits
; Kernel info:
; codeLenInByte = 1564
; TotalNumSgprs: 34
; NumVgprs: 24
; ScratchSize: 0
; MemoryBound: 0
; FloatMode: 240
; IeeeMode: 1
; LDSByteSize: 3072 bytes/workgroup (compile time only)
; SGPRBlocks: 4
; VGPRBlocks: 5
; NumSGPRsForWavesPerEU: 34
; NumVGPRsForWavesPerEU: 24
; Occupancy: 10
; WaveLimiterHint : 0
; COMPUTE_PGM_RSRC2:SCRATCH_EN: 0
; COMPUTE_PGM_RSRC2:USER_SGPR: 6
; COMPUTE_PGM_RSRC2:TRAP_HANDLER: 0
; COMPUTE_PGM_RSRC2:TGID_X_EN: 1
; COMPUTE_PGM_RSRC2:TGID_Y_EN: 0
; COMPUTE_PGM_RSRC2:TGID_Z_EN: 0
; COMPUTE_PGM_RSRC2:TIDIG_COMP_CNT: 0
	.section	.text._ZN9rocsparseL13coomvt_kernelILj1024Ei21rocsparse_complex_numIfES2_S2_S2_EEv20rocsparse_operation_lNS_24const_host_device_scalarIT4_EEPKT0_S9_PKT1_PKT2_PT3_21rocsparse_index_base_b,"axG",@progbits,_ZN9rocsparseL13coomvt_kernelILj1024Ei21rocsparse_complex_numIfES2_S2_S2_EEv20rocsparse_operation_lNS_24const_host_device_scalarIT4_EEPKT0_S9_PKT1_PKT2_PT3_21rocsparse_index_base_b,comdat
	.globl	_ZN9rocsparseL13coomvt_kernelILj1024Ei21rocsparse_complex_numIfES2_S2_S2_EEv20rocsparse_operation_lNS_24const_host_device_scalarIT4_EEPKT0_S9_PKT1_PKT2_PT3_21rocsparse_index_base_b ; -- Begin function _ZN9rocsparseL13coomvt_kernelILj1024Ei21rocsparse_complex_numIfES2_S2_S2_EEv20rocsparse_operation_lNS_24const_host_device_scalarIT4_EEPKT0_S9_PKT1_PKT2_PT3_21rocsparse_index_base_b
	.p2align	8
	.type	_ZN9rocsparseL13coomvt_kernelILj1024Ei21rocsparse_complex_numIfES2_S2_S2_EEv20rocsparse_operation_lNS_24const_host_device_scalarIT4_EEPKT0_S9_PKT1_PKT2_PT3_21rocsparse_index_base_b,@function
_ZN9rocsparseL13coomvt_kernelILj1024Ei21rocsparse_complex_numIfES2_S2_S2_EEv20rocsparse_operation_lNS_24const_host_device_scalarIT4_EEPKT0_S9_PKT1_PKT2_PT3_21rocsparse_index_base_b: ; @_ZN9rocsparseL13coomvt_kernelILj1024Ei21rocsparse_complex_numIfES2_S2_S2_EEv20rocsparse_operation_lNS_24const_host_device_scalarIT4_EEPKT0_S9_PKT1_PKT2_PT3_21rocsparse_index_base_b
; %bb.0:
	s_load_dwordx2 s[2:3], s[4:5], 0x40
	s_load_dwordx4 s[8:11], s[4:5], 0x8
	s_add_u32 s0, s4, 16
	s_addc_u32 s1, s5, 0
	s_waitcnt lgkmcnt(0)
	s_bitcmp1_b32 s3, 0
	s_cselect_b32 s1, s1, s11
	s_cselect_b32 s0, s0, s10
	v_mov_b32_e32 v1, s0
	v_mov_b32_e32 v2, s1
	flat_load_dwordx2 v[1:2], v[1:2]
	s_waitcnt vmcnt(0) lgkmcnt(0)
	v_cmp_neq_f32_e32 vcc, 0, v1
	v_cmp_neq_f32_e64 s[0:1], 0, v2
	s_or_b64 s[0:1], vcc, s[0:1]
	s_and_saveexec_b64 s[10:11], s[0:1]
	s_cbranch_execz .LBB24_6
; %bb.1:
	s_load_dword s0, s[4:5], 0x54
	v_mov_b32_e32 v4, 0
	s_waitcnt lgkmcnt(0)
	s_and_b32 s0, s0, 0xffff
	s_mul_i32 s6, s6, s0
	v_add_u32_e32 v3, s6, v0
	v_cmp_gt_i64_e32 vcc, s[8:9], v[3:4]
	s_and_b64 exec, exec, vcc
	s_cbranch_execz .LBB24_6
; %bb.2:
	s_load_dwordx8 s[8:15], s[4:5], 0x18
	v_lshlrev_b64 v[5:6], 2, v[3:4]
	v_lshlrev_b64 v[3:4], 3, v[3:4]
	s_load_dwordx2 s[0:1], s[4:5], 0x38
	s_waitcnt lgkmcnt(0)
	v_mov_b32_e32 v0, s9
	v_add_co_u32_e32 v7, vcc, s8, v5
	v_addc_co_u32_e32 v8, vcc, v0, v6, vcc
	global_load_dword v0, v[7:8], off
	v_mov_b32_e32 v7, s11
	v_add_co_u32_e32 v5, vcc, s10, v5
	v_addc_co_u32_e32 v6, vcc, v7, v6, vcc
	global_load_dword v5, v[5:6], off
	v_mov_b32_e32 v6, s13
	v_add_co_u32_e32 v3, vcc, s12, v3
	v_addc_co_u32_e32 v4, vcc, v6, v4, vcc
	global_load_dwordx2 v[10:11], v[3:4], off
	v_mov_b32_e32 v12, s15
	v_mov_b32_e32 v9, s1
	s_waitcnt vmcnt(2)
	v_subrev_u32_e32 v3, s2, v0
	v_ashrrev_i32_e32 v4, 31, v3
	v_lshlrev_b64 v[3:4], 3, v[3:4]
	v_add_co_u32_e32 v3, vcc, s14, v3
	s_waitcnt vmcnt(1)
	v_subrev_u32_e32 v5, s2, v5
	v_ashrrev_i32_e32 v6, 31, v5
	v_lshlrev_b64 v[7:8], 3, v[5:6]
	v_addc_co_u32_e32 v4, vcc, v12, v4, vcc
	global_load_dwordx2 v[5:6], v[3:4], off
	v_add_co_u32_e32 v3, vcc, s0, v7
	v_addc_co_u32_e32 v4, vcc, v9, v8, vcc
	global_load_dword v8, v[3:4], off
	s_load_dword s0, s[4:5], 0x0
	s_waitcnt lgkmcnt(0)
	s_cmpk_eq_i32 s0, 0x71
	s_cselect_b64 s[0:1], -1, 0
	s_waitcnt vmcnt(2)
	v_cndmask_b32_e64 v7, v11, -v11, s[0:1]
	v_mul_f32_e32 v9, v1, v7
	v_mul_f32_e64 v0, v7, -v2
	v_fmac_f32_e32 v9, v2, v10
	v_fmac_f32_e32 v0, v1, v10
	s_mov_b64 s[0:1], 0
	s_waitcnt vmcnt(1)
	v_mul_f32_e64 v1, v6, -v9
	v_fmac_f32_e32 v1, v0, v5
.LBB24_3:                               ; =>This Inner Loop Header: Depth=1
	s_waitcnt vmcnt(0)
	v_add_f32_e32 v7, v8, v1
	global_atomic_cmpswap v2, v[3:4], v[7:8], off glc
	s_waitcnt vmcnt(0)
	v_cmp_eq_u32_e32 vcc, v2, v8
	s_or_b64 s[0:1], vcc, s[0:1]
	v_mov_b32_e32 v8, v2
	s_andn2_b64 exec, exec, s[0:1]
	s_cbranch_execnz .LBB24_3
; %bb.4:
	s_or_b64 exec, exec, s[0:1]
	global_load_dword v1, v[3:4], off offset:4
	v_mul_f32_e32 v2, v0, v6
	v_fmac_f32_e32 v2, v9, v5
	s_mov_b64 s[0:1], 0
.LBB24_5:                               ; =>This Inner Loop Header: Depth=1
	s_waitcnt vmcnt(0)
	v_add_f32_e32 v0, v1, v2
	global_atomic_cmpswap v0, v[3:4], v[0:1], off offset:4 glc
	s_waitcnt vmcnt(0)
	v_cmp_eq_u32_e32 vcc, v0, v1
	s_or_b64 s[0:1], vcc, s[0:1]
	v_mov_b32_e32 v1, v0
	s_andn2_b64 exec, exec, s[0:1]
	s_cbranch_execnz .LBB24_5
.LBB24_6:
	s_endpgm
	.section	.rodata,"a",@progbits
	.p2align	6, 0x0
	.amdhsa_kernel _ZN9rocsparseL13coomvt_kernelILj1024Ei21rocsparse_complex_numIfES2_S2_S2_EEv20rocsparse_operation_lNS_24const_host_device_scalarIT4_EEPKT0_S9_PKT1_PKT2_PT3_21rocsparse_index_base_b
		.amdhsa_group_segment_fixed_size 0
		.amdhsa_private_segment_fixed_size 0
		.amdhsa_kernarg_size 328
		.amdhsa_user_sgpr_count 6
		.amdhsa_user_sgpr_private_segment_buffer 1
		.amdhsa_user_sgpr_dispatch_ptr 0
		.amdhsa_user_sgpr_queue_ptr 0
		.amdhsa_user_sgpr_kernarg_segment_ptr 1
		.amdhsa_user_sgpr_dispatch_id 0
		.amdhsa_user_sgpr_flat_scratch_init 0
		.amdhsa_user_sgpr_private_segment_size 0
		.amdhsa_uses_dynamic_stack 0
		.amdhsa_system_sgpr_private_segment_wavefront_offset 0
		.amdhsa_system_sgpr_workgroup_id_x 1
		.amdhsa_system_sgpr_workgroup_id_y 0
		.amdhsa_system_sgpr_workgroup_id_z 0
		.amdhsa_system_sgpr_workgroup_info 0
		.amdhsa_system_vgpr_workitem_id 0
		.amdhsa_next_free_vgpr 13
		.amdhsa_next_free_sgpr 16
		.amdhsa_reserve_vcc 1
		.amdhsa_reserve_flat_scratch 0
		.amdhsa_float_round_mode_32 0
		.amdhsa_float_round_mode_16_64 0
		.amdhsa_float_denorm_mode_32 3
		.amdhsa_float_denorm_mode_16_64 3
		.amdhsa_dx10_clamp 1
		.amdhsa_ieee_mode 1
		.amdhsa_fp16_overflow 0
		.amdhsa_exception_fp_ieee_invalid_op 0
		.amdhsa_exception_fp_denorm_src 0
		.amdhsa_exception_fp_ieee_div_zero 0
		.amdhsa_exception_fp_ieee_overflow 0
		.amdhsa_exception_fp_ieee_underflow 0
		.amdhsa_exception_fp_ieee_inexact 0
		.amdhsa_exception_int_div_zero 0
	.end_amdhsa_kernel
	.section	.text._ZN9rocsparseL13coomvt_kernelILj1024Ei21rocsparse_complex_numIfES2_S2_S2_EEv20rocsparse_operation_lNS_24const_host_device_scalarIT4_EEPKT0_S9_PKT1_PKT2_PT3_21rocsparse_index_base_b,"axG",@progbits,_ZN9rocsparseL13coomvt_kernelILj1024Ei21rocsparse_complex_numIfES2_S2_S2_EEv20rocsparse_operation_lNS_24const_host_device_scalarIT4_EEPKT0_S9_PKT1_PKT2_PT3_21rocsparse_index_base_b,comdat
.Lfunc_end24:
	.size	_ZN9rocsparseL13coomvt_kernelILj1024Ei21rocsparse_complex_numIfES2_S2_S2_EEv20rocsparse_operation_lNS_24const_host_device_scalarIT4_EEPKT0_S9_PKT1_PKT2_PT3_21rocsparse_index_base_b, .Lfunc_end24-_ZN9rocsparseL13coomvt_kernelILj1024Ei21rocsparse_complex_numIfES2_S2_S2_EEv20rocsparse_operation_lNS_24const_host_device_scalarIT4_EEPKT0_S9_PKT1_PKT2_PT3_21rocsparse_index_base_b
                                        ; -- End function
	.set _ZN9rocsparseL13coomvt_kernelILj1024Ei21rocsparse_complex_numIfES2_S2_S2_EEv20rocsparse_operation_lNS_24const_host_device_scalarIT4_EEPKT0_S9_PKT1_PKT2_PT3_21rocsparse_index_base_b.num_vgpr, 13
	.set _ZN9rocsparseL13coomvt_kernelILj1024Ei21rocsparse_complex_numIfES2_S2_S2_EEv20rocsparse_operation_lNS_24const_host_device_scalarIT4_EEPKT0_S9_PKT1_PKT2_PT3_21rocsparse_index_base_b.num_agpr, 0
	.set _ZN9rocsparseL13coomvt_kernelILj1024Ei21rocsparse_complex_numIfES2_S2_S2_EEv20rocsparse_operation_lNS_24const_host_device_scalarIT4_EEPKT0_S9_PKT1_PKT2_PT3_21rocsparse_index_base_b.numbered_sgpr, 16
	.set _ZN9rocsparseL13coomvt_kernelILj1024Ei21rocsparse_complex_numIfES2_S2_S2_EEv20rocsparse_operation_lNS_24const_host_device_scalarIT4_EEPKT0_S9_PKT1_PKT2_PT3_21rocsparse_index_base_b.num_named_barrier, 0
	.set _ZN9rocsparseL13coomvt_kernelILj1024Ei21rocsparse_complex_numIfES2_S2_S2_EEv20rocsparse_operation_lNS_24const_host_device_scalarIT4_EEPKT0_S9_PKT1_PKT2_PT3_21rocsparse_index_base_b.private_seg_size, 0
	.set _ZN9rocsparseL13coomvt_kernelILj1024Ei21rocsparse_complex_numIfES2_S2_S2_EEv20rocsparse_operation_lNS_24const_host_device_scalarIT4_EEPKT0_S9_PKT1_PKT2_PT3_21rocsparse_index_base_b.uses_vcc, 1
	.set _ZN9rocsparseL13coomvt_kernelILj1024Ei21rocsparse_complex_numIfES2_S2_S2_EEv20rocsparse_operation_lNS_24const_host_device_scalarIT4_EEPKT0_S9_PKT1_PKT2_PT3_21rocsparse_index_base_b.uses_flat_scratch, 0
	.set _ZN9rocsparseL13coomvt_kernelILj1024Ei21rocsparse_complex_numIfES2_S2_S2_EEv20rocsparse_operation_lNS_24const_host_device_scalarIT4_EEPKT0_S9_PKT1_PKT2_PT3_21rocsparse_index_base_b.has_dyn_sized_stack, 0
	.set _ZN9rocsparseL13coomvt_kernelILj1024Ei21rocsparse_complex_numIfES2_S2_S2_EEv20rocsparse_operation_lNS_24const_host_device_scalarIT4_EEPKT0_S9_PKT1_PKT2_PT3_21rocsparse_index_base_b.has_recursion, 0
	.set _ZN9rocsparseL13coomvt_kernelILj1024Ei21rocsparse_complex_numIfES2_S2_S2_EEv20rocsparse_operation_lNS_24const_host_device_scalarIT4_EEPKT0_S9_PKT1_PKT2_PT3_21rocsparse_index_base_b.has_indirect_call, 0
	.section	.AMDGPU.csdata,"",@progbits
; Kernel info:
; codeLenInByte = 484
; TotalNumSgprs: 20
; NumVgprs: 13
; ScratchSize: 0
; MemoryBound: 0
; FloatMode: 240
; IeeeMode: 1
; LDSByteSize: 0 bytes/workgroup (compile time only)
; SGPRBlocks: 2
; VGPRBlocks: 3
; NumSGPRsForWavesPerEU: 20
; NumVGPRsForWavesPerEU: 13
; Occupancy: 10
; WaveLimiterHint : 1
; COMPUTE_PGM_RSRC2:SCRATCH_EN: 0
; COMPUTE_PGM_RSRC2:USER_SGPR: 6
; COMPUTE_PGM_RSRC2:TRAP_HANDLER: 0
; COMPUTE_PGM_RSRC2:TGID_X_EN: 1
; COMPUTE_PGM_RSRC2:TGID_Y_EN: 0
; COMPUTE_PGM_RSRC2:TGID_Z_EN: 0
; COMPUTE_PGM_RSRC2:TIDIG_COMP_CNT: 0
	.section	.text._ZN9rocsparseL19coomvn_atomic_loopsILj256ELj1Ei21rocsparse_complex_numIfES2_S2_S2_EEvlNS_24const_host_device_scalarIT5_EEPKT1_S8_PKT2_PKT3_PT4_21rocsparse_index_base_b,"axG",@progbits,_ZN9rocsparseL19coomvn_atomic_loopsILj256ELj1Ei21rocsparse_complex_numIfES2_S2_S2_EEvlNS_24const_host_device_scalarIT5_EEPKT1_S8_PKT2_PKT3_PT4_21rocsparse_index_base_b,comdat
	.globl	_ZN9rocsparseL19coomvn_atomic_loopsILj256ELj1Ei21rocsparse_complex_numIfES2_S2_S2_EEvlNS_24const_host_device_scalarIT5_EEPKT1_S8_PKT2_PKT3_PT4_21rocsparse_index_base_b ; -- Begin function _ZN9rocsparseL19coomvn_atomic_loopsILj256ELj1Ei21rocsparse_complex_numIfES2_S2_S2_EEvlNS_24const_host_device_scalarIT5_EEPKT1_S8_PKT2_PKT3_PT4_21rocsparse_index_base_b
	.p2align	8
	.type	_ZN9rocsparseL19coomvn_atomic_loopsILj256ELj1Ei21rocsparse_complex_numIfES2_S2_S2_EEvlNS_24const_host_device_scalarIT5_EEPKT1_S8_PKT2_PKT3_PT4_21rocsparse_index_base_b,@function
_ZN9rocsparseL19coomvn_atomic_loopsILj256ELj1Ei21rocsparse_complex_numIfES2_S2_S2_EEvlNS_24const_host_device_scalarIT5_EEPKT1_S8_PKT2_PKT3_PT4_21rocsparse_index_base_b: ; @_ZN9rocsparseL19coomvn_atomic_loopsILj256ELj1Ei21rocsparse_complex_numIfES2_S2_S2_EEvlNS_24const_host_device_scalarIT5_EEPKT1_S8_PKT2_PKT3_PT4_21rocsparse_index_base_b
; %bb.0:
	s_load_dwordx2 s[2:3], s[4:5], 0x38
	s_load_dwordx4 s[8:11], s[4:5], 0x0
	s_or_b32 s0, s4, 8
	s_waitcnt lgkmcnt(0)
	s_bitcmp1_b32 s3, 0
	s_cselect_b32 s1, s5, s11
	s_cselect_b32 s0, s0, s10
	v_mov_b32_e32 v1, s0
	v_mov_b32_e32 v2, s1
	flat_load_dwordx2 v[1:2], v[1:2]
	s_waitcnt vmcnt(0) lgkmcnt(0)
	v_cmp_neq_f32_e32 vcc, 0, v1
	v_cmp_neq_f32_e64 s[0:1], 0, v2
	s_or_b64 s[0:1], vcc, s[0:1]
	s_and_saveexec_b64 s[10:11], s[0:1]
	s_cbranch_execz .LBB25_46
; %bb.1:
	v_lshl_or_b32 v6, s6, 8, v0
	v_mov_b32_e32 v7, 0
	v_cmp_gt_i64_e32 vcc, s[8:9], v[6:7]
	v_mov_b32_e32 v5, -1
	v_mov_b32_e32 v3, v7
	v_mov_b32_e32 v4, v7
	s_and_saveexec_b64 s[0:1], vcc
	s_cbranch_execz .LBB25_3
; %bb.2:
	s_load_dwordx8 s[8:15], s[4:5], 0x10
	v_lshlrev_b64 v[3:4], 2, v[6:7]
	s_waitcnt lgkmcnt(0)
	v_mov_b32_e32 v5, s11
	v_add_co_u32_e32 v8, vcc, s10, v3
	v_addc_co_u32_e32 v9, vcc, v5, v4, vcc
	global_load_dword v9, v[8:9], off glc slc
	v_lshlrev_b64 v[5:6], 3, v[6:7]
	v_mov_b32_e32 v7, s9
	v_add_co_u32_e32 v3, vcc, s8, v3
	v_addc_co_u32_e32 v4, vcc, v7, v4, vcc
	v_mov_b32_e32 v8, s13
	v_add_co_u32_e32 v5, vcc, s12, v5
	v_addc_co_u32_e32 v6, vcc, v8, v6, vcc
	global_load_dword v11, v[3:4], off glc slc
	global_load_dwordx2 v[7:8], v[5:6], off glc slc
	v_mov_b32_e32 v10, s15
	s_waitcnt vmcnt(2)
	v_subrev_u32_e32 v3, s2, v9
	v_ashrrev_i32_e32 v4, 31, v3
	v_lshlrev_b64 v[3:4], 3, v[3:4]
	v_add_co_u32_e32 v3, vcc, s14, v3
	v_addc_co_u32_e32 v4, vcc, v10, v4, vcc
	global_load_dwordx2 v[9:10], v[3:4], off
	s_waitcnt vmcnt(2)
	v_subrev_u32_e32 v5, s2, v11
	s_waitcnt vmcnt(0)
	v_mul_f32_e64 v3, v10, -v8
	v_mul_f32_e32 v4, v7, v10
	v_fmac_f32_e32 v3, v7, v9
	v_fmac_f32_e32 v4, v8, v9
.LBB25_3:
	s_or_b64 exec, exec, s[0:1]
	v_lshlrev_b32_e32 v7, 2, v0
	v_or_b32_e32 v6, 0x800, v7
	ds_write_b32 v7, v5 offset:2048
	v_lshlrev_b32_e32 v7, 3, v0
	v_cmp_ne_u32_e32 vcc, 0, v0
	ds_write_b64 v7, v[3:4]
	s_waitcnt lgkmcnt(0)
	s_barrier
	s_and_saveexec_b64 s[0:1], vcc
	s_cbranch_execz .LBB25_7
; %bb.4:
	v_add_u32_e32 v8, -4, v6
	ds_read_b32 v8, v8
	s_waitcnt lgkmcnt(0)
	v_cmp_eq_u32_e32 vcc, v5, v8
	s_and_saveexec_b64 s[2:3], vcc
	s_cbranch_execz .LBB25_6
; %bb.5:
	v_add_u32_e32 v8, -8, v7
	ds_read_b64 v[8:9], v8
	s_waitcnt lgkmcnt(0)
	v_add_f32_e32 v3, v3, v8
	v_add_f32_e32 v4, v4, v9
.LBB25_6:
	s_or_b64 exec, exec, s[2:3]
.LBB25_7:
	s_or_b64 exec, exec, s[0:1]
	v_cmp_lt_u32_e32 vcc, 1, v0
	s_barrier
	ds_write_b64 v7, v[3:4]
	s_waitcnt lgkmcnt(0)
	s_barrier
	s_and_saveexec_b64 s[0:1], vcc
	s_cbranch_execz .LBB25_11
; %bb.8:
	v_add_u32_e32 v8, -8, v6
	ds_read_b32 v8, v8
	s_waitcnt lgkmcnt(0)
	v_cmp_eq_u32_e32 vcc, v5, v8
	s_and_saveexec_b64 s[2:3], vcc
	s_cbranch_execz .LBB25_10
; %bb.9:
	v_add_u32_e32 v8, -16, v7
	ds_read_b64 v[8:9], v8
	s_waitcnt lgkmcnt(0)
	v_add_f32_e32 v3, v3, v8
	v_add_f32_e32 v4, v4, v9
.LBB25_10:
	s_or_b64 exec, exec, s[2:3]
.LBB25_11:
	s_or_b64 exec, exec, s[0:1]
	v_cmp_lt_u32_e32 vcc, 3, v0
	s_barrier
	ds_write_b64 v7, v[3:4]
	s_waitcnt lgkmcnt(0)
	s_barrier
	s_and_saveexec_b64 s[0:1], vcc
	s_cbranch_execz .LBB25_15
; %bb.12:
	v_add_u32_e32 v8, -16, v6
	ds_read_b32 v8, v8
	s_waitcnt lgkmcnt(0)
	v_cmp_eq_u32_e32 vcc, v5, v8
	s_and_saveexec_b64 s[2:3], vcc
	s_cbranch_execz .LBB25_14
; %bb.13:
	v_subrev_u32_e32 v8, 32, v7
	ds_read_b64 v[8:9], v8
	s_waitcnt lgkmcnt(0)
	v_add_f32_e32 v3, v3, v8
	v_add_f32_e32 v4, v4, v9
.LBB25_14:
	s_or_b64 exec, exec, s[2:3]
.LBB25_15:
	s_or_b64 exec, exec, s[0:1]
	v_cmp_lt_u32_e32 vcc, 7, v0
	s_barrier
	ds_write_b64 v7, v[3:4]
	s_waitcnt lgkmcnt(0)
	s_barrier
	s_and_saveexec_b64 s[0:1], vcc
	s_cbranch_execz .LBB25_19
; %bb.16:
	v_subrev_u32_e32 v8, 32, v6
	ds_read_b32 v8, v8
	s_waitcnt lgkmcnt(0)
	v_cmp_eq_u32_e32 vcc, v5, v8
	s_and_saveexec_b64 s[2:3], vcc
	s_cbranch_execz .LBB25_18
; %bb.17:
	v_subrev_u32_e32 v8, 64, v7
	ds_read_b64 v[8:9], v8
	s_waitcnt lgkmcnt(0)
	v_add_f32_e32 v3, v3, v8
	v_add_f32_e32 v4, v4, v9
.LBB25_18:
	s_or_b64 exec, exec, s[2:3]
.LBB25_19:
	s_or_b64 exec, exec, s[0:1]
	v_cmp_lt_u32_e32 vcc, 15, v0
	s_barrier
	ds_write_b64 v7, v[3:4]
	s_waitcnt lgkmcnt(0)
	s_barrier
	s_and_saveexec_b64 s[0:1], vcc
	s_cbranch_execz .LBB25_23
; %bb.20:
	v_subrev_u32_e32 v8, 64, v6
	ds_read_b32 v8, v8
	s_waitcnt lgkmcnt(0)
	v_cmp_eq_u32_e32 vcc, v5, v8
	s_and_saveexec_b64 s[2:3], vcc
	s_cbranch_execz .LBB25_22
; %bb.21:
	v_add_u32_e32 v8, 0xffffff80, v7
	ds_read_b64 v[8:9], v8
	s_waitcnt lgkmcnt(0)
	v_add_f32_e32 v3, v3, v8
	v_add_f32_e32 v4, v4, v9
.LBB25_22:
	s_or_b64 exec, exec, s[2:3]
.LBB25_23:
	s_or_b64 exec, exec, s[0:1]
	v_cmp_lt_u32_e32 vcc, 31, v0
	s_barrier
	ds_write_b64 v7, v[3:4]
	s_waitcnt lgkmcnt(0)
	s_barrier
	s_and_saveexec_b64 s[0:1], vcc
	s_cbranch_execz .LBB25_27
; %bb.24:
	v_add_u32_e32 v8, 0xffffff80, v6
	ds_read_b32 v8, v8
	s_waitcnt lgkmcnt(0)
	v_cmp_eq_u32_e32 vcc, v5, v8
	s_and_saveexec_b64 s[2:3], vcc
	s_cbranch_execz .LBB25_26
; %bb.25:
	v_add_u32_e32 v8, 0xffffff00, v7
	ds_read_b64 v[8:9], v8
	s_waitcnt lgkmcnt(0)
	v_add_f32_e32 v3, v3, v8
	v_add_f32_e32 v4, v4, v9
.LBB25_26:
	s_or_b64 exec, exec, s[2:3]
.LBB25_27:
	s_or_b64 exec, exec, s[0:1]
	v_cmp_lt_u32_e32 vcc, 63, v0
	s_barrier
	ds_write_b64 v7, v[3:4]
	s_waitcnt lgkmcnt(0)
	s_barrier
	s_and_saveexec_b64 s[0:1], vcc
	s_cbranch_execz .LBB25_31
; %bb.28:
	v_add_u32_e32 v8, 0xffffff00, v6
	ds_read_b32 v8, v8
	s_waitcnt lgkmcnt(0)
	v_cmp_eq_u32_e32 vcc, v5, v8
	s_and_saveexec_b64 s[2:3], vcc
	s_cbranch_execz .LBB25_30
; %bb.29:
	v_add_u32_e32 v8, 0xfffffe00, v7
	ds_read_b64 v[8:9], v8
	s_waitcnt lgkmcnt(0)
	v_add_f32_e32 v3, v3, v8
	v_add_f32_e32 v4, v4, v9
.LBB25_30:
	s_or_b64 exec, exec, s[2:3]
.LBB25_31:
	s_or_b64 exec, exec, s[0:1]
	s_load_dwordx2 s[2:3], s[4:5], 0x30
	s_movk_i32 s0, 0x7f
	v_cmp_lt_u32_e32 vcc, s0, v0
	s_waitcnt lgkmcnt(0)
	s_barrier
	ds_write_b64 v7, v[3:4]
	s_waitcnt lgkmcnt(0)
	s_barrier
	s_and_saveexec_b64 s[0:1], vcc
	s_cbranch_execz .LBB25_35
; %bb.32:
	v_add_u32_e32 v8, 0xfffffe00, v6
	ds_read_b32 v8, v8
	s_waitcnt lgkmcnt(0)
	v_cmp_eq_u32_e32 vcc, v5, v8
	s_and_saveexec_b64 s[4:5], vcc
	s_cbranch_execz .LBB25_34
; %bb.33:
	v_add_u32_e32 v8, 0xfffffc00, v7
	ds_read_b64 v[8:9], v8
	s_waitcnt lgkmcnt(0)
	v_add_f32_e32 v3, v3, v8
	v_add_f32_e32 v4, v4, v9
.LBB25_34:
	s_or_b64 exec, exec, s[4:5]
.LBB25_35:
	s_or_b64 exec, exec, s[0:1]
	s_movk_i32 s6, 0xff
	v_cmp_gt_u32_e32 vcc, s6, v0
	s_barrier
	ds_write_b64 v7, v[3:4]
	s_waitcnt lgkmcnt(0)
	s_barrier
	s_and_saveexec_b64 s[4:5], vcc
	s_cbranch_execz .LBB25_41
; %bb.36:
	ds_read_b32 v6, v6 offset:4
	v_cmp_lt_i32_e64 s[0:1], -1, v5
	s_waitcnt lgkmcnt(0)
	v_cmp_ne_u32_e32 vcc, v5, v6
	s_and_b64 s[0:1], s[0:1], vcc
	s_and_b64 exec, exec, s[0:1]
	s_cbranch_execz .LBB25_41
; %bb.37:
	v_mov_b32_e32 v6, 0
	v_lshlrev_b64 v[6:7], 3, v[5:6]
	v_mov_b32_e32 v8, s3
	v_add_co_u32_e32 v6, vcc, s2, v6
	v_addc_co_u32_e32 v7, vcc, v8, v7, vcc
	global_load_dword v9, v[6:7], off
	v_mul_f32_e64 v10, v4, -v2
	v_fmac_f32_e32 v10, v1, v3
	s_mov_b64 s[0:1], 0
.LBB25_38:                              ; =>This Inner Loop Header: Depth=1
	s_waitcnt vmcnt(0)
	v_add_f32_e32 v8, v9, v10
	global_atomic_cmpswap v8, v[6:7], v[8:9], off glc
	s_waitcnt vmcnt(0)
	v_cmp_eq_u32_e32 vcc, v8, v9
	s_or_b64 s[0:1], vcc, s[0:1]
	v_mov_b32_e32 v9, v8
	s_andn2_b64 exec, exec, s[0:1]
	s_cbranch_execnz .LBB25_38
; %bb.39:
	s_or_b64 exec, exec, s[0:1]
	global_load_dword v9, v[6:7], off offset:4
	v_mul_f32_e32 v10, v1, v4
	v_fmac_f32_e32 v10, v2, v3
	s_mov_b64 s[0:1], 0
.LBB25_40:                              ; =>This Inner Loop Header: Depth=1
	s_waitcnt vmcnt(0)
	v_add_f32_e32 v8, v9, v10
	global_atomic_cmpswap v8, v[6:7], v[8:9], off offset:4 glc
	s_waitcnt vmcnt(0)
	v_cmp_eq_u32_e32 vcc, v8, v9
	s_or_b64 s[0:1], vcc, s[0:1]
	v_mov_b32_e32 v9, v8
	s_andn2_b64 exec, exec, s[0:1]
	s_cbranch_execnz .LBB25_40
.LBB25_41:
	s_or_b64 exec, exec, s[4:5]
	v_cmp_eq_u32_e32 vcc, s6, v0
	v_cmp_lt_i32_e64 s[0:1], -1, v5
	s_and_b64 s[0:1], vcc, s[0:1]
	s_and_b64 exec, exec, s[0:1]
	s_cbranch_execz .LBB25_46
; %bb.42:
	v_mov_b32_e32 v6, 0
	v_lshlrev_b64 v[5:6], 3, v[5:6]
	v_mov_b32_e32 v0, s3
	v_add_co_u32_e32 v5, vcc, s2, v5
	v_addc_co_u32_e32 v6, vcc, v0, v6, vcc
	global_load_dword v8, v[5:6], off
	v_mul_f32_e64 v0, v4, -v2
	v_fmac_f32_e32 v0, v1, v3
	s_mov_b64 s[0:1], 0
.LBB25_43:                              ; =>This Inner Loop Header: Depth=1
	s_waitcnt vmcnt(0)
	v_add_f32_e32 v7, v8, v0
	global_atomic_cmpswap v7, v[5:6], v[7:8], off glc
	s_waitcnt vmcnt(0)
	v_cmp_eq_u32_e32 vcc, v7, v8
	s_or_b64 s[0:1], vcc, s[0:1]
	v_mov_b32_e32 v8, v7
	s_andn2_b64 exec, exec, s[0:1]
	s_cbranch_execnz .LBB25_43
; %bb.44:
	s_or_b64 exec, exec, s[0:1]
	global_load_dword v8, v[5:6], off offset:4
	v_mul_f32_e32 v0, v1, v4
	v_fmac_f32_e32 v0, v2, v3
	s_mov_b64 s[0:1], 0
.LBB25_45:                              ; =>This Inner Loop Header: Depth=1
	s_waitcnt vmcnt(0)
	v_add_f32_e32 v7, v8, v0
	global_atomic_cmpswap v1, v[5:6], v[7:8], off offset:4 glc
	s_waitcnt vmcnt(0)
	v_cmp_eq_u32_e32 vcc, v1, v8
	s_or_b64 s[0:1], vcc, s[0:1]
	v_mov_b32_e32 v8, v1
	s_andn2_b64 exec, exec, s[0:1]
	s_cbranch_execnz .LBB25_45
.LBB25_46:
	s_endpgm
	.section	.rodata,"a",@progbits
	.p2align	6, 0x0
	.amdhsa_kernel _ZN9rocsparseL19coomvn_atomic_loopsILj256ELj1Ei21rocsparse_complex_numIfES2_S2_S2_EEvlNS_24const_host_device_scalarIT5_EEPKT1_S8_PKT2_PKT3_PT4_21rocsparse_index_base_b
		.amdhsa_group_segment_fixed_size 3072
		.amdhsa_private_segment_fixed_size 0
		.amdhsa_kernarg_size 64
		.amdhsa_user_sgpr_count 6
		.amdhsa_user_sgpr_private_segment_buffer 1
		.amdhsa_user_sgpr_dispatch_ptr 0
		.amdhsa_user_sgpr_queue_ptr 0
		.amdhsa_user_sgpr_kernarg_segment_ptr 1
		.amdhsa_user_sgpr_dispatch_id 0
		.amdhsa_user_sgpr_flat_scratch_init 0
		.amdhsa_user_sgpr_private_segment_size 0
		.amdhsa_uses_dynamic_stack 0
		.amdhsa_system_sgpr_private_segment_wavefront_offset 0
		.amdhsa_system_sgpr_workgroup_id_x 1
		.amdhsa_system_sgpr_workgroup_id_y 0
		.amdhsa_system_sgpr_workgroup_id_z 0
		.amdhsa_system_sgpr_workgroup_info 0
		.amdhsa_system_vgpr_workitem_id 0
		.amdhsa_next_free_vgpr 12
		.amdhsa_next_free_sgpr 16
		.amdhsa_reserve_vcc 1
		.amdhsa_reserve_flat_scratch 0
		.amdhsa_float_round_mode_32 0
		.amdhsa_float_round_mode_16_64 0
		.amdhsa_float_denorm_mode_32 3
		.amdhsa_float_denorm_mode_16_64 3
		.amdhsa_dx10_clamp 1
		.amdhsa_ieee_mode 1
		.amdhsa_fp16_overflow 0
		.amdhsa_exception_fp_ieee_invalid_op 0
		.amdhsa_exception_fp_denorm_src 0
		.amdhsa_exception_fp_ieee_div_zero 0
		.amdhsa_exception_fp_ieee_overflow 0
		.amdhsa_exception_fp_ieee_underflow 0
		.amdhsa_exception_fp_ieee_inexact 0
		.amdhsa_exception_int_div_zero 0
	.end_amdhsa_kernel
	.section	.text._ZN9rocsparseL19coomvn_atomic_loopsILj256ELj1Ei21rocsparse_complex_numIfES2_S2_S2_EEvlNS_24const_host_device_scalarIT5_EEPKT1_S8_PKT2_PKT3_PT4_21rocsparse_index_base_b,"axG",@progbits,_ZN9rocsparseL19coomvn_atomic_loopsILj256ELj1Ei21rocsparse_complex_numIfES2_S2_S2_EEvlNS_24const_host_device_scalarIT5_EEPKT1_S8_PKT2_PKT3_PT4_21rocsparse_index_base_b,comdat
.Lfunc_end25:
	.size	_ZN9rocsparseL19coomvn_atomic_loopsILj256ELj1Ei21rocsparse_complex_numIfES2_S2_S2_EEvlNS_24const_host_device_scalarIT5_EEPKT1_S8_PKT2_PKT3_PT4_21rocsparse_index_base_b, .Lfunc_end25-_ZN9rocsparseL19coomvn_atomic_loopsILj256ELj1Ei21rocsparse_complex_numIfES2_S2_S2_EEvlNS_24const_host_device_scalarIT5_EEPKT1_S8_PKT2_PKT3_PT4_21rocsparse_index_base_b
                                        ; -- End function
	.set _ZN9rocsparseL19coomvn_atomic_loopsILj256ELj1Ei21rocsparse_complex_numIfES2_S2_S2_EEvlNS_24const_host_device_scalarIT5_EEPKT1_S8_PKT2_PKT3_PT4_21rocsparse_index_base_b.num_vgpr, 12
	.set _ZN9rocsparseL19coomvn_atomic_loopsILj256ELj1Ei21rocsparse_complex_numIfES2_S2_S2_EEvlNS_24const_host_device_scalarIT5_EEPKT1_S8_PKT2_PKT3_PT4_21rocsparse_index_base_b.num_agpr, 0
	.set _ZN9rocsparseL19coomvn_atomic_loopsILj256ELj1Ei21rocsparse_complex_numIfES2_S2_S2_EEvlNS_24const_host_device_scalarIT5_EEPKT1_S8_PKT2_PKT3_PT4_21rocsparse_index_base_b.numbered_sgpr, 16
	.set _ZN9rocsparseL19coomvn_atomic_loopsILj256ELj1Ei21rocsparse_complex_numIfES2_S2_S2_EEvlNS_24const_host_device_scalarIT5_EEPKT1_S8_PKT2_PKT3_PT4_21rocsparse_index_base_b.num_named_barrier, 0
	.set _ZN9rocsparseL19coomvn_atomic_loopsILj256ELj1Ei21rocsparse_complex_numIfES2_S2_S2_EEvlNS_24const_host_device_scalarIT5_EEPKT1_S8_PKT2_PKT3_PT4_21rocsparse_index_base_b.private_seg_size, 0
	.set _ZN9rocsparseL19coomvn_atomic_loopsILj256ELj1Ei21rocsparse_complex_numIfES2_S2_S2_EEvlNS_24const_host_device_scalarIT5_EEPKT1_S8_PKT2_PKT3_PT4_21rocsparse_index_base_b.uses_vcc, 1
	.set _ZN9rocsparseL19coomvn_atomic_loopsILj256ELj1Ei21rocsparse_complex_numIfES2_S2_S2_EEvlNS_24const_host_device_scalarIT5_EEPKT1_S8_PKT2_PKT3_PT4_21rocsparse_index_base_b.uses_flat_scratch, 0
	.set _ZN9rocsparseL19coomvn_atomic_loopsILj256ELj1Ei21rocsparse_complex_numIfES2_S2_S2_EEvlNS_24const_host_device_scalarIT5_EEPKT1_S8_PKT2_PKT3_PT4_21rocsparse_index_base_b.has_dyn_sized_stack, 0
	.set _ZN9rocsparseL19coomvn_atomic_loopsILj256ELj1Ei21rocsparse_complex_numIfES2_S2_S2_EEvlNS_24const_host_device_scalarIT5_EEPKT1_S8_PKT2_PKT3_PT4_21rocsparse_index_base_b.has_recursion, 0
	.set _ZN9rocsparseL19coomvn_atomic_loopsILj256ELj1Ei21rocsparse_complex_numIfES2_S2_S2_EEvlNS_24const_host_device_scalarIT5_EEPKT1_S8_PKT2_PKT3_PT4_21rocsparse_index_base_b.has_indirect_call, 0
	.section	.AMDGPU.csdata,"",@progbits
; Kernel info:
; codeLenInByte = 1488
; TotalNumSgprs: 20
; NumVgprs: 12
; ScratchSize: 0
; MemoryBound: 0
; FloatMode: 240
; IeeeMode: 1
; LDSByteSize: 3072 bytes/workgroup (compile time only)
; SGPRBlocks: 2
; VGPRBlocks: 2
; NumSGPRsForWavesPerEU: 20
; NumVGPRsForWavesPerEU: 12
; Occupancy: 10
; WaveLimiterHint : 1
; COMPUTE_PGM_RSRC2:SCRATCH_EN: 0
; COMPUTE_PGM_RSRC2:USER_SGPR: 6
; COMPUTE_PGM_RSRC2:TRAP_HANDLER: 0
; COMPUTE_PGM_RSRC2:TGID_X_EN: 1
; COMPUTE_PGM_RSRC2:TGID_Y_EN: 0
; COMPUTE_PGM_RSRC2:TGID_Z_EN: 0
; COMPUTE_PGM_RSRC2:TIDIG_COMP_CNT: 0
	.section	.text._ZN9rocsparseL19coomvn_atomic_loopsILj256ELj2Ei21rocsparse_complex_numIfES2_S2_S2_EEvlNS_24const_host_device_scalarIT5_EEPKT1_S8_PKT2_PKT3_PT4_21rocsparse_index_base_b,"axG",@progbits,_ZN9rocsparseL19coomvn_atomic_loopsILj256ELj2Ei21rocsparse_complex_numIfES2_S2_S2_EEvlNS_24const_host_device_scalarIT5_EEPKT1_S8_PKT2_PKT3_PT4_21rocsparse_index_base_b,comdat
	.globl	_ZN9rocsparseL19coomvn_atomic_loopsILj256ELj2Ei21rocsparse_complex_numIfES2_S2_S2_EEvlNS_24const_host_device_scalarIT5_EEPKT1_S8_PKT2_PKT3_PT4_21rocsparse_index_base_b ; -- Begin function _ZN9rocsparseL19coomvn_atomic_loopsILj256ELj2Ei21rocsparse_complex_numIfES2_S2_S2_EEvlNS_24const_host_device_scalarIT5_EEPKT1_S8_PKT2_PKT3_PT4_21rocsparse_index_base_b
	.p2align	8
	.type	_ZN9rocsparseL19coomvn_atomic_loopsILj256ELj2Ei21rocsparse_complex_numIfES2_S2_S2_EEvlNS_24const_host_device_scalarIT5_EEPKT1_S8_PKT2_PKT3_PT4_21rocsparse_index_base_b,@function
_ZN9rocsparseL19coomvn_atomic_loopsILj256ELj2Ei21rocsparse_complex_numIfES2_S2_S2_EEvlNS_24const_host_device_scalarIT5_EEPKT1_S8_PKT2_PKT3_PT4_21rocsparse_index_base_b: ; @_ZN9rocsparseL19coomvn_atomic_loopsILj256ELj2Ei21rocsparse_complex_numIfES2_S2_S2_EEvlNS_24const_host_device_scalarIT5_EEPKT1_S8_PKT2_PKT3_PT4_21rocsparse_index_base_b
; %bb.0:
	s_load_dwordx2 s[34:35], s[4:5], 0x38
	s_load_dwordx4 s[36:39], s[4:5], 0x0
	s_or_b32 s0, s4, 8
	s_waitcnt lgkmcnt(0)
	s_bitcmp1_b32 s35, 0
	s_cselect_b32 s1, s5, s39
	s_cselect_b32 s0, s0, s38
	v_mov_b32_e32 v1, s0
	v_mov_b32_e32 v2, s1
	flat_load_dwordx2 v[1:2], v[1:2]
	s_waitcnt vmcnt(0) lgkmcnt(0)
	v_cmp_neq_f32_e32 vcc, 0, v1
	v_cmp_neq_f32_e64 s[0:1], 0, v2
	s_or_b64 s[0:1], vcc, s[0:1]
	s_and_saveexec_b64 s[2:3], s[0:1]
	s_cbranch_execz .LBB26_105
; %bb.1:
	s_load_dwordx8 s[24:31], s[4:5], 0x10
	v_lshl_or_b32 v3, s6, 9, v0
	v_mov_b32_e32 v4, 0
	v_cmp_gt_i64_e32 vcc, s[36:37], v[3:4]
	v_lshlrev_b64 v[8:9], 2, v[3:4]
	v_lshlrev_b64 v[6:7], 3, v[3:4]
	v_mov_b32_e32 v12, -1
	v_mov_b32_e32 v10, v4
	v_mov_b32_e32 v11, v4
	s_and_saveexec_b64 s[0:1], vcc
	s_cbranch_execz .LBB26_3
; %bb.2:
	s_waitcnt lgkmcnt(0)
	v_mov_b32_e32 v5, s27
	v_add_co_u32_e32 v4, vcc, s26, v8
	v_addc_co_u32_e32 v5, vcc, v5, v9, vcc
	global_load_dword v12, v[4:5], off glc slc
	v_mov_b32_e32 v5, s25
	v_add_co_u32_e32 v4, vcc, s24, v8
	v_addc_co_u32_e32 v5, vcc, v5, v9, vcc
	v_mov_b32_e32 v11, s29
	v_add_co_u32_e32 v10, vcc, s28, v6
	v_addc_co_u32_e32 v11, vcc, v11, v7, vcc
	global_load_dword v16, v[4:5], off glc slc
	global_load_dwordx2 v[13:14], v[10:11], off glc slc
	v_mov_b32_e32 v15, s31
	s_waitcnt vmcnt(2)
	v_subrev_u32_e32 v4, s34, v12
	v_ashrrev_i32_e32 v5, 31, v4
	v_lshlrev_b64 v[4:5], 3, v[4:5]
	v_add_co_u32_e32 v4, vcc, s30, v4
	v_addc_co_u32_e32 v5, vcc, v15, v5, vcc
	global_load_dwordx2 v[4:5], v[4:5], off
	s_waitcnt vmcnt(2)
	v_subrev_u32_e32 v12, s34, v16
	s_waitcnt vmcnt(0)
	v_mul_f32_e64 v10, v5, -v14
	v_mul_f32_e32 v11, v13, v5
	v_fmac_f32_e32 v10, v13, v4
	v_fmac_f32_e32 v11, v14, v4
.LBB26_3:
	s_or_b64 exec, exec, s[0:1]
	v_lshlrev_b32_e32 v4, 2, v0
	v_or_b32_e32 v14, 0x800, v4
	v_lshlrev_b32_e32 v15, 3, v0
	v_cmp_eq_u32_e64 s[18:19], 0, v0
	v_cmp_ne_u32_e64 s[0:1], 0, v0
	v_add_u32_e32 v16, -4, v14
	ds_write_b32 v4, v12 offset:2048
	ds_write_b64 v15, v[10:11]
	s_waitcnt lgkmcnt(0)
	s_barrier
	s_and_saveexec_b64 s[2:3], s[0:1]
	s_cbranch_execz .LBB26_7
; %bb.4:
	ds_read_b32 v4, v16
	s_waitcnt lgkmcnt(0)
	v_cmp_eq_u32_e32 vcc, v12, v4
	s_and_saveexec_b64 s[6:7], vcc
	s_cbranch_execz .LBB26_6
; %bb.5:
	v_add_u32_e32 v4, -8, v15
	ds_read_b64 v[4:5], v4
	s_waitcnt lgkmcnt(0)
	v_add_f32_e32 v10, v10, v4
	v_add_f32_e32 v11, v11, v5
.LBB26_6:
	s_or_b64 exec, exec, s[6:7]
.LBB26_7:
	s_or_b64 exec, exec, s[2:3]
	v_cmp_lt_u32_e64 s[2:3], 1, v0
	v_add_u32_e32 v17, -8, v14
	s_barrier
	ds_write_b64 v15, v[10:11]
	s_waitcnt lgkmcnt(0)
	s_barrier
	s_and_saveexec_b64 s[6:7], s[2:3]
	s_cbranch_execz .LBB26_11
; %bb.8:
	ds_read_b32 v4, v17
	s_waitcnt lgkmcnt(0)
	v_cmp_eq_u32_e32 vcc, v12, v4
	s_and_saveexec_b64 s[8:9], vcc
	s_cbranch_execz .LBB26_10
; %bb.9:
	v_add_u32_e32 v4, -16, v15
	ds_read_b64 v[4:5], v4
	s_waitcnt lgkmcnt(0)
	v_add_f32_e32 v10, v10, v4
	v_add_f32_e32 v11, v11, v5
.LBB26_10:
	s_or_b64 exec, exec, s[8:9]
.LBB26_11:
	s_or_b64 exec, exec, s[6:7]
	v_cmp_lt_u32_e64 s[20:21], 3, v0
	v_add_u32_e32 v18, -16, v14
	s_barrier
	ds_write_b64 v15, v[10:11]
	s_waitcnt lgkmcnt(0)
	s_barrier
	s_and_saveexec_b64 s[6:7], s[20:21]
	s_cbranch_execz .LBB26_15
; %bb.12:
	ds_read_b32 v4, v18
	s_waitcnt lgkmcnt(0)
	v_cmp_eq_u32_e32 vcc, v12, v4
	s_and_saveexec_b64 s[8:9], vcc
	s_cbranch_execz .LBB26_14
; %bb.13:
	v_subrev_u32_e32 v4, 32, v15
	ds_read_b64 v[4:5], v4
	s_waitcnt lgkmcnt(0)
	v_add_f32_e32 v10, v10, v4
	v_add_f32_e32 v11, v11, v5
.LBB26_14:
	s_or_b64 exec, exec, s[8:9]
.LBB26_15:
	s_or_b64 exec, exec, s[6:7]
	v_cmp_lt_u32_e64 s[6:7], 7, v0
	v_subrev_u32_e32 v19, 32, v14
	s_barrier
	ds_write_b64 v15, v[10:11]
	s_waitcnt lgkmcnt(0)
	s_barrier
	s_and_saveexec_b64 s[8:9], s[6:7]
	s_cbranch_execz .LBB26_19
; %bb.16:
	ds_read_b32 v4, v19
	s_waitcnt lgkmcnt(0)
	v_cmp_eq_u32_e32 vcc, v12, v4
	s_and_saveexec_b64 s[10:11], vcc
	s_cbranch_execz .LBB26_18
; %bb.17:
	v_subrev_u32_e32 v4, 64, v15
	ds_read_b64 v[4:5], v4
	s_waitcnt lgkmcnt(0)
	v_add_f32_e32 v10, v10, v4
	v_add_f32_e32 v11, v11, v5
.LBB26_18:
	s_or_b64 exec, exec, s[10:11]
.LBB26_19:
	s_or_b64 exec, exec, s[8:9]
	v_cmp_lt_u32_e64 s[8:9], 15, v0
	v_subrev_u32_e32 v20, 64, v14
	s_barrier
	ds_write_b64 v15, v[10:11]
	s_waitcnt lgkmcnt(0)
	s_barrier
	s_and_saveexec_b64 s[10:11], s[8:9]
	s_cbranch_execz .LBB26_23
; %bb.20:
	ds_read_b32 v4, v20
	s_waitcnt lgkmcnt(0)
	v_cmp_eq_u32_e32 vcc, v12, v4
	s_and_saveexec_b64 s[12:13], vcc
	s_cbranch_execz .LBB26_22
; %bb.21:
	v_add_u32_e32 v4, 0xffffff80, v15
	ds_read_b64 v[4:5], v4
	s_waitcnt lgkmcnt(0)
	v_add_f32_e32 v10, v10, v4
	v_add_f32_e32 v11, v11, v5
.LBB26_22:
	s_or_b64 exec, exec, s[12:13]
.LBB26_23:
	s_or_b64 exec, exec, s[10:11]
	v_cmp_lt_u32_e64 s[10:11], 31, v0
	s_barrier
	ds_write_b64 v15, v[10:11]
	s_waitcnt lgkmcnt(0)
	s_barrier
	s_and_saveexec_b64 s[12:13], s[10:11]
	s_cbranch_execz .LBB26_27
; %bb.24:
	v_add_u32_e32 v4, 0xffffff80, v14
	ds_read_b32 v4, v4
	s_waitcnt lgkmcnt(0)
	v_cmp_eq_u32_e32 vcc, v12, v4
	s_and_saveexec_b64 s[14:15], vcc
	s_cbranch_execz .LBB26_26
; %bb.25:
	v_add_u32_e32 v4, 0xffffff00, v15
	ds_read_b64 v[4:5], v4
	s_waitcnt lgkmcnt(0)
	v_add_f32_e32 v10, v10, v4
	v_add_f32_e32 v11, v11, v5
.LBB26_26:
	s_or_b64 exec, exec, s[14:15]
.LBB26_27:
	s_or_b64 exec, exec, s[12:13]
	v_cmp_lt_u32_e64 s[12:13], 63, v0
	s_barrier
	ds_write_b64 v15, v[10:11]
	s_waitcnt lgkmcnt(0)
	s_barrier
	s_and_saveexec_b64 s[14:15], s[12:13]
	s_cbranch_execz .LBB26_31
; %bb.28:
	v_add_u32_e32 v4, 0xffffff00, v14
	ds_read_b32 v4, v4
	s_waitcnt lgkmcnt(0)
	v_cmp_eq_u32_e32 vcc, v12, v4
	s_and_saveexec_b64 s[16:17], vcc
	s_cbranch_execz .LBB26_30
; %bb.29:
	v_add_u32_e32 v4, 0xfffffe00, v15
	ds_read_b64 v[4:5], v4
	s_waitcnt lgkmcnt(0)
	v_add_f32_e32 v10, v10, v4
	v_add_f32_e32 v11, v11, v5
.LBB26_30:
	s_or_b64 exec, exec, s[16:17]
.LBB26_31:
	s_or_b64 exec, exec, s[14:15]
	s_load_dwordx2 s[22:23], s[4:5], 0x30
	s_movk_i32 s4, 0x7f
	v_cmp_lt_u32_e64 s[14:15], s4, v0
	s_waitcnt lgkmcnt(0)
	s_barrier
	ds_write_b64 v15, v[10:11]
	s_waitcnt lgkmcnt(0)
	s_barrier
	s_and_saveexec_b64 s[4:5], s[14:15]
	s_cbranch_execz .LBB26_35
; %bb.32:
	v_add_u32_e32 v4, 0xfffffe00, v14
	ds_read_b32 v4, v4
	s_waitcnt lgkmcnt(0)
	v_cmp_eq_u32_e32 vcc, v12, v4
	s_and_saveexec_b64 s[16:17], vcc
	s_cbranch_execz .LBB26_34
; %bb.33:
	v_add_u32_e32 v4, 0xfffffc00, v15
	ds_read_b64 v[4:5], v4
	s_waitcnt lgkmcnt(0)
	v_add_f32_e32 v10, v10, v4
	v_add_f32_e32 v11, v11, v5
.LBB26_34:
	s_or_b64 exec, exec, s[16:17]
.LBB26_35:
	s_or_b64 exec, exec, s[4:5]
	s_movk_i32 s4, 0xff
	v_cmp_gt_u32_e64 s[16:17], s4, v0
	s_barrier
	ds_write_b64 v15, v[10:11]
	s_waitcnt lgkmcnt(0)
	s_barrier
	s_and_saveexec_b64 s[38:39], s[16:17]
	s_cbranch_execz .LBB26_41
; %bb.36:
	ds_read_b32 v4, v14 offset:4
	v_cmp_lt_i32_e64 s[4:5], -1, v12
	s_waitcnt lgkmcnt(0)
	v_cmp_ne_u32_e32 vcc, v12, v4
	s_and_b64 s[4:5], s[4:5], vcc
	s_and_b64 exec, exec, s[4:5]
	s_cbranch_execz .LBB26_41
; %bb.37:
	v_mov_b32_e32 v13, 0
	v_lshlrev_b64 v[4:5], 3, v[12:13]
	v_mov_b32_e32 v12, s23
	v_add_co_u32_e32 v4, vcc, s22, v4
	v_addc_co_u32_e32 v5, vcc, v12, v5, vcc
	global_load_dword v13, v[4:5], off
	v_mul_f32_e64 v21, v11, -v2
	v_fmac_f32_e32 v21, v1, v10
	s_mov_b64 s[4:5], 0
.LBB26_38:                              ; =>This Inner Loop Header: Depth=1
	s_waitcnt vmcnt(0)
	v_add_f32_e32 v12, v13, v21
	global_atomic_cmpswap v12, v[4:5], v[12:13], off glc
	s_waitcnt vmcnt(0)
	v_cmp_eq_u32_e32 vcc, v12, v13
	s_or_b64 s[4:5], vcc, s[4:5]
	v_mov_b32_e32 v13, v12
	s_andn2_b64 exec, exec, s[4:5]
	s_cbranch_execnz .LBB26_38
; %bb.39:
	s_or_b64 exec, exec, s[4:5]
	global_load_dword v12, v[4:5], off offset:4
	v_mul_f32_e32 v13, v1, v11
	v_fmac_f32_e32 v13, v2, v10
	s_mov_b64 s[4:5], 0
.LBB26_40:                              ; =>This Inner Loop Header: Depth=1
	s_waitcnt vmcnt(0)
	v_add_f32_e32 v11, v12, v13
	global_atomic_cmpswap v10, v[4:5], v[11:12], off offset:4 glc
	s_waitcnt vmcnt(0)
	v_cmp_eq_u32_e32 vcc, v10, v12
	s_or_b64 s[4:5], vcc, s[4:5]
	v_mov_b32_e32 v12, v10
	s_andn2_b64 exec, exec, s[4:5]
	s_cbranch_execnz .LBB26_40
.LBB26_41:
	s_or_b64 exec, exec, s[38:39]
	v_add_co_u32_e32 v3, vcc, 0x100, v3
	v_addc_co_u32_e64 v4, s[4:5], 0, 0, vcc
	v_cmp_gt_i64_e32 vcc, s[36:37], v[3:4]
	v_mov_b32_e32 v5, -1
	v_mov_b32_e32 v3, 0
	v_mov_b32_e32 v4, 0
	s_and_saveexec_b64 s[4:5], vcc
	s_cbranch_execz .LBB26_43
; %bb.42:
	v_mov_b32_e32 v4, s27
	v_add_co_u32_e32 v3, vcc, s26, v8
	v_addc_co_u32_e32 v4, vcc, v4, v9, vcc
	global_load_dword v10, v[3:4], off offset:1024 glc slc
	v_mov_b32_e32 v4, s25
	v_add_co_u32_e32 v3, vcc, s24, v8
	v_addc_co_u32_e32 v4, vcc, v4, v9, vcc
	v_mov_b32_e32 v11, s29
	v_add_co_u32_e32 v5, vcc, s28, v6
	v_addc_co_u32_e32 v6, vcc, v11, v7, vcc
	global_load_dword v11, v[3:4], off offset:1024 glc slc
	global_load_dwordx2 v[7:8], v[5:6], off offset:2048 glc slc
	v_mov_b32_e32 v12, s31
	s_waitcnt vmcnt(2)
	v_subrev_u32_e32 v3, s34, v10
	v_ashrrev_i32_e32 v4, 31, v3
	v_lshlrev_b64 v[3:4], 3, v[3:4]
	v_add_co_u32_e32 v3, vcc, s30, v3
	v_addc_co_u32_e32 v4, vcc, v12, v4, vcc
	global_load_dwordx2 v[9:10], v[3:4], off
	s_waitcnt vmcnt(2)
	v_subrev_u32_e32 v5, s34, v11
	s_waitcnt vmcnt(0)
	v_mul_f32_e64 v3, v10, -v8
	v_mul_f32_e32 v4, v7, v10
	v_fmac_f32_e32 v3, v7, v9
	v_fmac_f32_e32 v4, v8, v9
.LBB26_43:
	s_or_b64 exec, exec, s[4:5]
	s_and_saveexec_b64 s[4:5], s[18:19]
	s_cbranch_execz .LBB26_62
; %bb.44:
	v_mov_b32_e32 v6, 0
	ds_read_b32 v6, v6 offset:3068
	s_waitcnt lgkmcnt(0)
	v_readfirstlane_b32 s24, v6
	v_cmp_ne_u32_e32 vcc, v5, v6
	s_and_saveexec_b64 s[18:19], vcc
	s_xor_b64 s[18:19], exec, s[18:19]
	s_cbranch_execz .LBB26_59
; %bb.45:
	s_cmp_lt_i32 s24, 0
	s_cbranch_scc1 .LBB26_59
; %bb.46:
	v_mov_b32_e32 v6, 0
	ds_read_b64 v[6:7], v6 offset:2040
	s_mov_b64 s[26:27], exec
	v_bfrev_b32_e32 v10, 1
	s_waitcnt lgkmcnt(0)
	v_mul_f32_e64 v8, v7, -v2
	v_fmac_f32_e32 v8, v1, v6
.LBB26_47:                              ; =>This Inner Loop Header: Depth=1
	s_ff1_i32_b64 s25, s[26:27]
	s_lshl_b64 s[28:29], 1, s25
	v_readlane_b32 s30, v8, s25
	s_andn2_b64 s[26:27], s[26:27], s[28:29]
	s_cmp_lg_u64 s[26:27], 0
	v_add_f32_e32 v10, s30, v10
	s_cbranch_scc1 .LBB26_47
; %bb.48:
	s_mov_b32 s25, 0
	s_lshl_b64 s[24:25], s[24:25], 3
	v_mbcnt_lo_u32_b32 v8, exec_lo, 0
	s_add_u32 s24, s22, s24
	v_mbcnt_hi_u32_b32 v8, exec_hi, v8
	s_addc_u32 s25, s23, s25
	v_cmp_eq_u32_e32 vcc, 0, v8
	s_and_saveexec_b64 s[26:27], vcc
	s_xor_b64 s[26:27], exec, s[26:27]
	s_cbranch_execz .LBB26_52
; %bb.49:
	v_mov_b32_e32 v11, 0
	global_load_dword v9, v11, s[24:25]
	s_mov_b64 s[28:29], 0
.LBB26_50:                              ; =>This Inner Loop Header: Depth=1
	s_waitcnt vmcnt(0)
	v_add_f32_e32 v8, v9, v10
	global_atomic_cmpswap v8, v11, v[8:9], s[24:25] glc
	s_waitcnt vmcnt(0)
	v_cmp_eq_u32_e32 vcc, v8, v9
	s_or_b64 s[28:29], vcc, s[28:29]
	v_mov_b32_e32 v9, v8
	s_andn2_b64 exec, exec, s[28:29]
	s_cbranch_execnz .LBB26_50
; %bb.51:
	s_or_b64 exec, exec, s[28:29]
.LBB26_52:
	s_or_b64 exec, exec, s[26:27]
	v_mul_f32_e32 v7, v1, v7
	s_mov_b64 s[26:27], exec
	v_fmac_f32_e32 v7, v2, v6
	v_bfrev_b32_e32 v8, 1
.LBB26_53:                              ; =>This Inner Loop Header: Depth=1
	s_ff1_i32_b64 s28, s[26:27]
	v_readlane_b32 s30, v7, s28
	s_lshl_b64 s[28:29], 1, s28
	s_andn2_b64 s[26:27], s[26:27], s[28:29]
	s_cmp_lg_u64 s[26:27], 0
	v_add_f32_e32 v8, s30, v8
	s_cbranch_scc1 .LBB26_53
; %bb.54:
	v_mbcnt_lo_u32_b32 v6, exec_lo, 0
	v_mbcnt_hi_u32_b32 v6, exec_hi, v6
	v_cmp_eq_u32_e32 vcc, 0, v6
	s_and_saveexec_b64 s[26:27], vcc
	s_xor_b64 s[26:27], exec, s[26:27]
	s_cbranch_execz .LBB26_58
; %bb.55:
	v_mov_b32_e32 v9, 0
	global_load_dword v7, v9, s[24:25] offset:4
	s_mov_b64 s[28:29], 0
.LBB26_56:                              ; =>This Inner Loop Header: Depth=1
	s_waitcnt vmcnt(0)
	v_add_f32_e32 v6, v7, v8
	global_atomic_cmpswap v6, v9, v[6:7], s[24:25] offset:4 glc
	s_waitcnt vmcnt(0)
	v_cmp_eq_u32_e32 vcc, v6, v7
	s_or_b64 s[28:29], vcc, s[28:29]
	v_mov_b32_e32 v7, v6
	s_andn2_b64 exec, exec, s[28:29]
	s_cbranch_execnz .LBB26_56
; %bb.57:
	s_or_b64 exec, exec, s[28:29]
.LBB26_58:
	s_or_b64 exec, exec, s[26:27]
.LBB26_59:
	s_andn2_saveexec_b64 s[18:19], s[18:19]
	s_cbranch_execz .LBB26_61
; %bb.60:
	v_mov_b32_e32 v6, 0
	ds_read_b64 v[6:7], v6 offset:2040
	s_waitcnt lgkmcnt(0)
	v_add_f32_e32 v3, v3, v6
	v_add_f32_e32 v4, v4, v7
.LBB26_61:
	s_or_b64 exec, exec, s[18:19]
.LBB26_62:
	s_or_b64 exec, exec, s[4:5]
	s_barrier
	ds_write_b32 v14, v5
	ds_write_b64 v15, v[3:4]
	s_waitcnt lgkmcnt(0)
	s_barrier
	s_and_saveexec_b64 s[4:5], s[0:1]
	s_cbranch_execz .LBB26_66
; %bb.63:
	ds_read_b32 v6, v16
	s_waitcnt lgkmcnt(0)
	v_cmp_eq_u32_e32 vcc, v5, v6
	s_and_saveexec_b64 s[0:1], vcc
	s_cbranch_execz .LBB26_65
; %bb.64:
	v_add_u32_e32 v6, -8, v15
	ds_read_b64 v[6:7], v6
	s_waitcnt lgkmcnt(0)
	v_add_f32_e32 v3, v3, v6
	v_add_f32_e32 v4, v4, v7
.LBB26_65:
	s_or_b64 exec, exec, s[0:1]
.LBB26_66:
	s_or_b64 exec, exec, s[4:5]
	s_barrier
	ds_write_b64 v15, v[3:4]
	s_waitcnt lgkmcnt(0)
	s_barrier
	s_and_saveexec_b64 s[0:1], s[2:3]
	s_cbranch_execz .LBB26_70
; %bb.67:
	ds_read_b32 v6, v17
	s_waitcnt lgkmcnt(0)
	v_cmp_eq_u32_e32 vcc, v5, v6
	s_and_saveexec_b64 s[2:3], vcc
	s_cbranch_execz .LBB26_69
; %bb.68:
	v_add_u32_e32 v6, -16, v15
	ds_read_b64 v[6:7], v6
	s_waitcnt lgkmcnt(0)
	v_add_f32_e32 v3, v3, v6
	v_add_f32_e32 v4, v4, v7
.LBB26_69:
	s_or_b64 exec, exec, s[2:3]
.LBB26_70:
	s_or_b64 exec, exec, s[0:1]
	s_barrier
	ds_write_b64 v15, v[3:4]
	s_waitcnt lgkmcnt(0)
	s_barrier
	s_and_saveexec_b64 s[0:1], s[20:21]
	s_cbranch_execz .LBB26_74
; %bb.71:
	ds_read_b32 v6, v18
	s_waitcnt lgkmcnt(0)
	v_cmp_eq_u32_e32 vcc, v5, v6
	s_and_saveexec_b64 s[2:3], vcc
	s_cbranch_execz .LBB26_73
; %bb.72:
	v_subrev_u32_e32 v6, 32, v15
	ds_read_b64 v[6:7], v6
	s_waitcnt lgkmcnt(0)
	v_add_f32_e32 v3, v3, v6
	v_add_f32_e32 v4, v4, v7
.LBB26_73:
	s_or_b64 exec, exec, s[2:3]
.LBB26_74:
	s_or_b64 exec, exec, s[0:1]
	s_barrier
	ds_write_b64 v15, v[3:4]
	s_waitcnt lgkmcnt(0)
	s_barrier
	s_and_saveexec_b64 s[0:1], s[6:7]
	s_cbranch_execz .LBB26_78
; %bb.75:
	ds_read_b32 v6, v19
	s_waitcnt lgkmcnt(0)
	v_cmp_eq_u32_e32 vcc, v5, v6
	s_and_saveexec_b64 s[2:3], vcc
	s_cbranch_execz .LBB26_77
; %bb.76:
	v_subrev_u32_e32 v6, 64, v15
	ds_read_b64 v[6:7], v6
	s_waitcnt lgkmcnt(0)
	v_add_f32_e32 v3, v3, v6
	v_add_f32_e32 v4, v4, v7
.LBB26_77:
	s_or_b64 exec, exec, s[2:3]
.LBB26_78:
	s_or_b64 exec, exec, s[0:1]
	s_barrier
	ds_write_b64 v15, v[3:4]
	s_waitcnt lgkmcnt(0)
	s_barrier
	s_and_saveexec_b64 s[0:1], s[8:9]
	s_cbranch_execz .LBB26_82
; %bb.79:
	ds_read_b32 v6, v20
	s_waitcnt lgkmcnt(0)
	v_cmp_eq_u32_e32 vcc, v5, v6
	s_and_saveexec_b64 s[2:3], vcc
	s_cbranch_execz .LBB26_81
; %bb.80:
	v_add_u32_e32 v6, 0xffffff80, v15
	ds_read_b64 v[6:7], v6
	s_waitcnt lgkmcnt(0)
	v_add_f32_e32 v3, v3, v6
	v_add_f32_e32 v4, v4, v7
.LBB26_81:
	s_or_b64 exec, exec, s[2:3]
.LBB26_82:
	s_or_b64 exec, exec, s[0:1]
	s_barrier
	ds_write_b64 v15, v[3:4]
	s_waitcnt lgkmcnt(0)
	s_barrier
	s_and_saveexec_b64 s[0:1], s[10:11]
	s_cbranch_execz .LBB26_86
; %bb.83:
	v_add_u32_e32 v6, 0xffffff80, v14
	ds_read_b32 v6, v6
	s_waitcnt lgkmcnt(0)
	v_cmp_eq_u32_e32 vcc, v5, v6
	s_and_saveexec_b64 s[2:3], vcc
	s_cbranch_execz .LBB26_85
; %bb.84:
	v_add_u32_e32 v6, 0xffffff00, v15
	ds_read_b64 v[6:7], v6
	s_waitcnt lgkmcnt(0)
	v_add_f32_e32 v3, v3, v6
	v_add_f32_e32 v4, v4, v7
.LBB26_85:
	s_or_b64 exec, exec, s[2:3]
.LBB26_86:
	s_or_b64 exec, exec, s[0:1]
	s_barrier
	ds_write_b64 v15, v[3:4]
	s_waitcnt lgkmcnt(0)
	s_barrier
	s_and_saveexec_b64 s[0:1], s[12:13]
	s_cbranch_execz .LBB26_90
; %bb.87:
	v_add_u32_e32 v6, 0xffffff00, v14
	ds_read_b32 v6, v6
	s_waitcnt lgkmcnt(0)
	v_cmp_eq_u32_e32 vcc, v5, v6
	s_and_saveexec_b64 s[2:3], vcc
	s_cbranch_execz .LBB26_89
; %bb.88:
	v_add_u32_e32 v6, 0xfffffe00, v15
	ds_read_b64 v[6:7], v6
	s_waitcnt lgkmcnt(0)
	v_add_f32_e32 v3, v3, v6
	v_add_f32_e32 v4, v4, v7
.LBB26_89:
	s_or_b64 exec, exec, s[2:3]
.LBB26_90:
	;; [unrolled: 23-line block ×3, first 2 shown]
	s_or_b64 exec, exec, s[0:1]
	s_barrier
	ds_write_b64 v15, v[3:4]
	s_waitcnt lgkmcnt(0)
	s_barrier
	s_and_saveexec_b64 s[2:3], s[16:17]
	s_cbranch_execz .LBB26_100
; %bb.95:
	ds_read_b32 v6, v14 offset:4
	v_cmp_lt_i32_e64 s[0:1], -1, v5
	s_waitcnt lgkmcnt(0)
	v_cmp_ne_u32_e32 vcc, v5, v6
	s_and_b64 s[0:1], s[0:1], vcc
	s_and_b64 exec, exec, s[0:1]
	s_cbranch_execz .LBB26_100
; %bb.96:
	v_mov_b32_e32 v6, 0
	v_lshlrev_b64 v[6:7], 3, v[5:6]
	v_mov_b32_e32 v8, s23
	v_add_co_u32_e32 v6, vcc, s22, v6
	v_addc_co_u32_e32 v7, vcc, v8, v7, vcc
	global_load_dword v9, v[6:7], off
	v_mul_f32_e64 v10, v4, -v2
	v_fmac_f32_e32 v10, v1, v3
	s_mov_b64 s[0:1], 0
.LBB26_97:                              ; =>This Inner Loop Header: Depth=1
	s_waitcnt vmcnt(0)
	v_add_f32_e32 v8, v9, v10
	global_atomic_cmpswap v8, v[6:7], v[8:9], off glc
	s_waitcnt vmcnt(0)
	v_cmp_eq_u32_e32 vcc, v8, v9
	s_or_b64 s[0:1], vcc, s[0:1]
	v_mov_b32_e32 v9, v8
	s_andn2_b64 exec, exec, s[0:1]
	s_cbranch_execnz .LBB26_97
; %bb.98:
	s_or_b64 exec, exec, s[0:1]
	global_load_dword v9, v[6:7], off offset:4
	v_mul_f32_e32 v10, v1, v4
	v_fmac_f32_e32 v10, v2, v3
	s_mov_b64 s[0:1], 0
.LBB26_99:                              ; =>This Inner Loop Header: Depth=1
	s_waitcnt vmcnt(0)
	v_add_f32_e32 v8, v9, v10
	global_atomic_cmpswap v8, v[6:7], v[8:9], off offset:4 glc
	s_waitcnt vmcnt(0)
	v_cmp_eq_u32_e32 vcc, v8, v9
	s_or_b64 s[0:1], vcc, s[0:1]
	v_mov_b32_e32 v9, v8
	s_andn2_b64 exec, exec, s[0:1]
	s_cbranch_execnz .LBB26_99
.LBB26_100:
	s_or_b64 exec, exec, s[2:3]
	s_movk_i32 s0, 0xff
	v_cmp_eq_u32_e32 vcc, s0, v0
	v_cmp_lt_i32_e64 s[0:1], -1, v5
	s_and_b64 s[0:1], vcc, s[0:1]
	s_and_b64 exec, exec, s[0:1]
	s_cbranch_execz .LBB26_105
; %bb.101:
	v_mov_b32_e32 v6, 0
	v_lshlrev_b64 v[5:6], 3, v[5:6]
	v_mov_b32_e32 v0, s23
	v_add_co_u32_e32 v5, vcc, s22, v5
	v_addc_co_u32_e32 v6, vcc, v0, v6, vcc
	global_load_dword v8, v[5:6], off
	v_mul_f32_e64 v0, v4, -v2
	v_fmac_f32_e32 v0, v1, v3
	s_mov_b64 s[0:1], 0
.LBB26_102:                             ; =>This Inner Loop Header: Depth=1
	s_waitcnt vmcnt(0)
	v_add_f32_e32 v7, v8, v0
	global_atomic_cmpswap v7, v[5:6], v[7:8], off glc
	s_waitcnt vmcnt(0)
	v_cmp_eq_u32_e32 vcc, v7, v8
	s_or_b64 s[0:1], vcc, s[0:1]
	v_mov_b32_e32 v8, v7
	s_andn2_b64 exec, exec, s[0:1]
	s_cbranch_execnz .LBB26_102
; %bb.103:
	s_or_b64 exec, exec, s[0:1]
	global_load_dword v8, v[5:6], off offset:4
	v_mul_f32_e32 v0, v1, v4
	v_fmac_f32_e32 v0, v2, v3
	s_mov_b64 s[0:1], 0
.LBB26_104:                             ; =>This Inner Loop Header: Depth=1
	s_waitcnt vmcnt(0)
	v_add_f32_e32 v7, v8, v0
	global_atomic_cmpswap v1, v[5:6], v[7:8], off offset:4 glc
	s_waitcnt vmcnt(0)
	v_cmp_eq_u32_e32 vcc, v1, v8
	s_or_b64 s[0:1], vcc, s[0:1]
	v_mov_b32_e32 v8, v1
	s_andn2_b64 exec, exec, s[0:1]
	s_cbranch_execnz .LBB26_104
.LBB26_105:
	s_endpgm
	.section	.rodata,"a",@progbits
	.p2align	6, 0x0
	.amdhsa_kernel _ZN9rocsparseL19coomvn_atomic_loopsILj256ELj2Ei21rocsparse_complex_numIfES2_S2_S2_EEvlNS_24const_host_device_scalarIT5_EEPKT1_S8_PKT2_PKT3_PT4_21rocsparse_index_base_b
		.amdhsa_group_segment_fixed_size 3072
		.amdhsa_private_segment_fixed_size 0
		.amdhsa_kernarg_size 64
		.amdhsa_user_sgpr_count 6
		.amdhsa_user_sgpr_private_segment_buffer 1
		.amdhsa_user_sgpr_dispatch_ptr 0
		.amdhsa_user_sgpr_queue_ptr 0
		.amdhsa_user_sgpr_kernarg_segment_ptr 1
		.amdhsa_user_sgpr_dispatch_id 0
		.amdhsa_user_sgpr_flat_scratch_init 0
		.amdhsa_user_sgpr_private_segment_size 0
		.amdhsa_uses_dynamic_stack 0
		.amdhsa_system_sgpr_private_segment_wavefront_offset 0
		.amdhsa_system_sgpr_workgroup_id_x 1
		.amdhsa_system_sgpr_workgroup_id_y 0
		.amdhsa_system_sgpr_workgroup_id_z 0
		.amdhsa_system_sgpr_workgroup_info 0
		.amdhsa_system_vgpr_workitem_id 0
		.amdhsa_next_free_vgpr 22
		.amdhsa_next_free_sgpr 40
		.amdhsa_reserve_vcc 1
		.amdhsa_reserve_flat_scratch 0
		.amdhsa_float_round_mode_32 0
		.amdhsa_float_round_mode_16_64 0
		.amdhsa_float_denorm_mode_32 3
		.amdhsa_float_denorm_mode_16_64 3
		.amdhsa_dx10_clamp 1
		.amdhsa_ieee_mode 1
		.amdhsa_fp16_overflow 0
		.amdhsa_exception_fp_ieee_invalid_op 0
		.amdhsa_exception_fp_denorm_src 0
		.amdhsa_exception_fp_ieee_div_zero 0
		.amdhsa_exception_fp_ieee_overflow 0
		.amdhsa_exception_fp_ieee_underflow 0
		.amdhsa_exception_fp_ieee_inexact 0
		.amdhsa_exception_int_div_zero 0
	.end_amdhsa_kernel
	.section	.text._ZN9rocsparseL19coomvn_atomic_loopsILj256ELj2Ei21rocsparse_complex_numIfES2_S2_S2_EEvlNS_24const_host_device_scalarIT5_EEPKT1_S8_PKT2_PKT3_PT4_21rocsparse_index_base_b,"axG",@progbits,_ZN9rocsparseL19coomvn_atomic_loopsILj256ELj2Ei21rocsparse_complex_numIfES2_S2_S2_EEvlNS_24const_host_device_scalarIT5_EEPKT1_S8_PKT2_PKT3_PT4_21rocsparse_index_base_b,comdat
.Lfunc_end26:
	.size	_ZN9rocsparseL19coomvn_atomic_loopsILj256ELj2Ei21rocsparse_complex_numIfES2_S2_S2_EEvlNS_24const_host_device_scalarIT5_EEPKT1_S8_PKT2_PKT3_PT4_21rocsparse_index_base_b, .Lfunc_end26-_ZN9rocsparseL19coomvn_atomic_loopsILj256ELj2Ei21rocsparse_complex_numIfES2_S2_S2_EEvlNS_24const_host_device_scalarIT5_EEPKT1_S8_PKT2_PKT3_PT4_21rocsparse_index_base_b
                                        ; -- End function
	.set _ZN9rocsparseL19coomvn_atomic_loopsILj256ELj2Ei21rocsparse_complex_numIfES2_S2_S2_EEvlNS_24const_host_device_scalarIT5_EEPKT1_S8_PKT2_PKT3_PT4_21rocsparse_index_base_b.num_vgpr, 22
	.set _ZN9rocsparseL19coomvn_atomic_loopsILj256ELj2Ei21rocsparse_complex_numIfES2_S2_S2_EEvlNS_24const_host_device_scalarIT5_EEPKT1_S8_PKT2_PKT3_PT4_21rocsparse_index_base_b.num_agpr, 0
	.set _ZN9rocsparseL19coomvn_atomic_loopsILj256ELj2Ei21rocsparse_complex_numIfES2_S2_S2_EEvlNS_24const_host_device_scalarIT5_EEPKT1_S8_PKT2_PKT3_PT4_21rocsparse_index_base_b.numbered_sgpr, 40
	.set _ZN9rocsparseL19coomvn_atomic_loopsILj256ELj2Ei21rocsparse_complex_numIfES2_S2_S2_EEvlNS_24const_host_device_scalarIT5_EEPKT1_S8_PKT2_PKT3_PT4_21rocsparse_index_base_b.num_named_barrier, 0
	.set _ZN9rocsparseL19coomvn_atomic_loopsILj256ELj2Ei21rocsparse_complex_numIfES2_S2_S2_EEvlNS_24const_host_device_scalarIT5_EEPKT1_S8_PKT2_PKT3_PT4_21rocsparse_index_base_b.private_seg_size, 0
	.set _ZN9rocsparseL19coomvn_atomic_loopsILj256ELj2Ei21rocsparse_complex_numIfES2_S2_S2_EEvlNS_24const_host_device_scalarIT5_EEPKT1_S8_PKT2_PKT3_PT4_21rocsparse_index_base_b.uses_vcc, 1
	.set _ZN9rocsparseL19coomvn_atomic_loopsILj256ELj2Ei21rocsparse_complex_numIfES2_S2_S2_EEvlNS_24const_host_device_scalarIT5_EEPKT1_S8_PKT2_PKT3_PT4_21rocsparse_index_base_b.uses_flat_scratch, 0
	.set _ZN9rocsparseL19coomvn_atomic_loopsILj256ELj2Ei21rocsparse_complex_numIfES2_S2_S2_EEvlNS_24const_host_device_scalarIT5_EEPKT1_S8_PKT2_PKT3_PT4_21rocsparse_index_base_b.has_dyn_sized_stack, 0
	.set _ZN9rocsparseL19coomvn_atomic_loopsILj256ELj2Ei21rocsparse_complex_numIfES2_S2_S2_EEvlNS_24const_host_device_scalarIT5_EEPKT1_S8_PKT2_PKT3_PT4_21rocsparse_index_base_b.has_recursion, 0
	.set _ZN9rocsparseL19coomvn_atomic_loopsILj256ELj2Ei21rocsparse_complex_numIfES2_S2_S2_EEvlNS_24const_host_device_scalarIT5_EEPKT1_S8_PKT2_PKT3_PT4_21rocsparse_index_base_b.has_indirect_call, 0
	.section	.AMDGPU.csdata,"",@progbits
; Kernel info:
; codeLenInByte = 3068
; TotalNumSgprs: 44
; NumVgprs: 22
; ScratchSize: 0
; MemoryBound: 0
; FloatMode: 240
; IeeeMode: 1
; LDSByteSize: 3072 bytes/workgroup (compile time only)
; SGPRBlocks: 5
; VGPRBlocks: 5
; NumSGPRsForWavesPerEU: 44
; NumVGPRsForWavesPerEU: 22
; Occupancy: 10
; WaveLimiterHint : 1
; COMPUTE_PGM_RSRC2:SCRATCH_EN: 0
; COMPUTE_PGM_RSRC2:USER_SGPR: 6
; COMPUTE_PGM_RSRC2:TRAP_HANDLER: 0
; COMPUTE_PGM_RSRC2:TGID_X_EN: 1
; COMPUTE_PGM_RSRC2:TGID_Y_EN: 0
; COMPUTE_PGM_RSRC2:TGID_Z_EN: 0
; COMPUTE_PGM_RSRC2:TIDIG_COMP_CNT: 0
	.section	.text._ZN9rocsparseL22coomvn_segmented_loopsILj256El21rocsparse_complex_numIfES2_S2_S2_EEvlT0_NS_24const_host_device_scalarIT4_EEPKS3_S8_PKT1_PKT2_PT3_PS3_PS5_21rocsparse_index_base_b,"axG",@progbits,_ZN9rocsparseL22coomvn_segmented_loopsILj256El21rocsparse_complex_numIfES2_S2_S2_EEvlT0_NS_24const_host_device_scalarIT4_EEPKS3_S8_PKT1_PKT2_PT3_PS3_PS5_21rocsparse_index_base_b,comdat
	.globl	_ZN9rocsparseL22coomvn_segmented_loopsILj256El21rocsparse_complex_numIfES2_S2_S2_EEvlT0_NS_24const_host_device_scalarIT4_EEPKS3_S8_PKT1_PKT2_PT3_PS3_PS5_21rocsparse_index_base_b ; -- Begin function _ZN9rocsparseL22coomvn_segmented_loopsILj256El21rocsparse_complex_numIfES2_S2_S2_EEvlT0_NS_24const_host_device_scalarIT4_EEPKS3_S8_PKT1_PKT2_PT3_PS3_PS5_21rocsparse_index_base_b
	.p2align	8
	.type	_ZN9rocsparseL22coomvn_segmented_loopsILj256El21rocsparse_complex_numIfES2_S2_S2_EEvlT0_NS_24const_host_device_scalarIT4_EEPKS3_S8_PKT1_PKT2_PT3_PS3_PS5_21rocsparse_index_base_b,@function
_ZN9rocsparseL22coomvn_segmented_loopsILj256El21rocsparse_complex_numIfES2_S2_S2_EEvlT0_NS_24const_host_device_scalarIT4_EEPKS3_S8_PKT1_PKT2_PT3_PS3_PS5_21rocsparse_index_base_b: ; @_ZN9rocsparseL22coomvn_segmented_loopsILj256El21rocsparse_complex_numIfES2_S2_S2_EEvlT0_NS_24const_host_device_scalarIT4_EEPKS3_S8_PKT1_PKT2_PT3_PS3_PS5_21rocsparse_index_base_b
; %bb.0:
	s_load_dwordx2 s[34:35], s[4:5], 0x50
	s_load_dwordx2 s[0:1], s[4:5], 0x10
	s_add_u32 s2, s4, 16
	s_addc_u32 s3, s5, 0
	s_mov_b32 s7, 0
	s_waitcnt lgkmcnt(0)
	s_bitcmp1_b32 s35, 0
	s_cselect_b32 s1, s3, s1
	s_cselect_b32 s0, s2, s0
	v_mov_b32_e32 v1, s0
	v_mov_b32_e32 v2, s1
	flat_load_dwordx2 v[1:2], v[1:2]
	s_waitcnt vmcnt(0) lgkmcnt(0)
	v_cmp_neq_f32_e32 vcc, 0, v1
	v_cmp_neq_f32_e64 s[0:1], 0, v2
	s_or_b64 s[0:1], vcc, s[0:1]
	s_and_saveexec_b64 s[2:3], s[0:1]
	s_cbranch_execz .LBB27_87
; %bb.1:
	s_load_dwordx4 s[28:31], s[4:5], 0x0
	s_load_dwordx8 s[36:43], s[4:5], 0x18
	v_mov_b32_e32 v3, 0
	v_mov_b32_e32 v5, -1
	v_mov_b32_e32 v6, -1
	s_waitcnt lgkmcnt(0)
	s_mul_i32 s1, s6, s31
	s_mul_hi_u32 s2, s6, s30
	s_mul_i32 s0, s6, s30
	s_add_i32 s1, s2, s1
	s_lshl_b64 s[0:1], s[0:1], 8
	v_or_b32_e32 v11, s0, v0
	v_mov_b32_e32 v12, s1
	v_cmp_gt_i64_e32 vcc, s[28:29], v[11:12]
	v_mov_b32_e32 v4, v3
	s_and_saveexec_b64 s[0:1], vcc
	s_cbranch_execz .LBB27_3
; %bb.2:
	v_lshlrev_b64 v[3:4], 3, v[11:12]
	v_mov_b32_e32 v6, s39
	v_add_co_u32_e32 v5, vcc, s38, v3
	v_addc_co_u32_e32 v6, vcc, v6, v4, vcc
	global_load_dwordx2 v[5:6], v[5:6], off glc slc
	v_mov_b32_e32 v8, s37
	v_add_co_u32_e32 v7, vcc, s36, v3
	v_addc_co_u32_e32 v8, vcc, v8, v4, vcc
	v_mov_b32_e32 v9, s41
	v_add_co_u32_e32 v3, vcc, s40, v3
	v_addc_co_u32_e32 v4, vcc, v9, v4, vcc
	global_load_dwordx2 v[9:10], v[7:8], off glc slc
	global_load_dwordx2 v[13:14], v[3:4], off glc slc
	v_mov_b32_e32 v15, s43
	s_ashr_i32 s35, s34, 31
	s_lshl_b64 s[2:3], s[34:35], 3
	v_mov_b32_e32 v16, s3
	s_waitcnt vmcnt(2)
	v_lshlrev_b64 v[3:4], 3, v[5:6]
	v_add_co_u32_e32 v3, vcc, s42, v3
	v_addc_co_u32_e32 v4, vcc, v15, v4, vcc
	v_subrev_co_u32_e32 v3, vcc, s2, v3
	v_subb_co_u32_e32 v4, vcc, v4, v16, vcc
	global_load_dwordx2 v[7:8], v[3:4], off
	s_waitcnt vmcnt(2)
	v_subrev_co_u32_e32 v5, vcc, s34, v9
	v_subbrev_co_u32_e32 v6, vcc, 0, v10, vcc
	s_waitcnt vmcnt(0)
	v_mul_f32_e64 v3, v8, -v14
	v_mul_f32_e32 v4, v13, v8
	v_fmac_f32_e32 v3, v13, v7
	v_fmac_f32_e32 v4, v14, v7
.LBB27_3:
	s_or_b64 exec, exec, s[0:1]
	v_lshlrev_b32_e32 v17, 3, v0
	v_or_b32_e32 v18, 0x800, v17
	v_cmp_eq_u32_e64 s[0:1], 0, v0
	v_cmp_ne_u32_e64 s[2:3], 0, v0
	v_add_u32_e32 v19, -8, v17
	ds_write2st64_b64 v17, v[5:6], v[3:4] offset1:4
	s_waitcnt lgkmcnt(0)
	s_barrier
	s_and_saveexec_b64 s[8:9], s[2:3]
	s_cbranch_execz .LBB27_7
; %bb.4:
	ds_read_b64 v[7:8], v19
	s_waitcnt lgkmcnt(0)
	v_cmp_eq_u64_e32 vcc, v[5:6], v[7:8]
	s_and_saveexec_b64 s[10:11], vcc
	s_cbranch_execz .LBB27_6
; %bb.5:
	v_add_u32_e32 v7, -8, v18
	ds_read_b64 v[7:8], v7
	s_waitcnt lgkmcnt(0)
	v_add_f32_e32 v3, v3, v7
	v_add_f32_e32 v4, v4, v8
.LBB27_6:
	s_or_b64 exec, exec, s[10:11]
.LBB27_7:
	s_or_b64 exec, exec, s[8:9]
	v_cmp_lt_u32_e64 s[22:23], 1, v0
	v_add_u32_e32 v20, -16, v17
	s_barrier
	ds_write_b64 v18, v[3:4]
	s_waitcnt lgkmcnt(0)
	s_barrier
	s_and_saveexec_b64 s[8:9], s[22:23]
	s_cbranch_execz .LBB27_11
; %bb.8:
	ds_read_b64 v[7:8], v20
	s_waitcnt lgkmcnt(0)
	v_cmp_eq_u64_e32 vcc, v[5:6], v[7:8]
	s_and_saveexec_b64 s[10:11], vcc
	s_cbranch_execz .LBB27_10
; %bb.9:
	v_add_u32_e32 v7, -16, v18
	ds_read_b64 v[7:8], v7
	s_waitcnt lgkmcnt(0)
	v_add_f32_e32 v3, v3, v7
	v_add_f32_e32 v4, v4, v8
.LBB27_10:
	s_or_b64 exec, exec, s[10:11]
.LBB27_11:
	s_or_b64 exec, exec, s[8:9]
	v_cmp_lt_u32_e64 s[8:9], 3, v0
	v_subrev_u32_e32 v21, 32, v17
	s_barrier
	ds_write_b64 v18, v[3:4]
	s_waitcnt lgkmcnt(0)
	s_barrier
	s_and_saveexec_b64 s[10:11], s[8:9]
	s_cbranch_execz .LBB27_15
; %bb.12:
	ds_read_b64 v[7:8], v21
	s_waitcnt lgkmcnt(0)
	v_cmp_eq_u64_e32 vcc, v[5:6], v[7:8]
	s_and_saveexec_b64 s[12:13], vcc
	s_cbranch_execz .LBB27_14
; %bb.13:
	v_subrev_u32_e32 v7, 32, v18
	ds_read_b64 v[7:8], v7
	s_waitcnt lgkmcnt(0)
	v_add_f32_e32 v3, v3, v7
	v_add_f32_e32 v4, v4, v8
.LBB27_14:
	s_or_b64 exec, exec, s[12:13]
.LBB27_15:
	s_or_b64 exec, exec, s[10:11]
	v_cmp_lt_u32_e64 s[10:11], 7, v0
	v_subrev_u32_e32 v22, 64, v17
	s_barrier
	ds_write_b64 v18, v[3:4]
	s_waitcnt lgkmcnt(0)
	s_barrier
	s_and_saveexec_b64 s[12:13], s[10:11]
	s_cbranch_execz .LBB27_19
; %bb.16:
	ds_read_b64 v[7:8], v22
	s_waitcnt lgkmcnt(0)
	v_cmp_eq_u64_e32 vcc, v[5:6], v[7:8]
	s_and_saveexec_b64 s[14:15], vcc
	s_cbranch_execz .LBB27_18
; %bb.17:
	v_subrev_u32_e32 v7, 64, v18
	ds_read_b64 v[7:8], v7
	s_waitcnt lgkmcnt(0)
	v_add_f32_e32 v3, v3, v7
	v_add_f32_e32 v4, v4, v8
.LBB27_18:
	s_or_b64 exec, exec, s[14:15]
.LBB27_19:
	s_or_b64 exec, exec, s[12:13]
	v_cmp_lt_u32_e64 s[12:13], 15, v0
	s_barrier
	ds_write_b64 v18, v[3:4]
	s_waitcnt lgkmcnt(0)
	s_barrier
	s_and_saveexec_b64 s[14:15], s[12:13]
	s_cbranch_execz .LBB27_23
; %bb.20:
	v_add_u32_e32 v7, 0xffffff80, v17
	ds_read_b64 v[7:8], v7
	s_waitcnt lgkmcnt(0)
	v_cmp_eq_u64_e32 vcc, v[5:6], v[7:8]
	s_and_saveexec_b64 s[16:17], vcc
	s_cbranch_execz .LBB27_22
; %bb.21:
	v_add_u32_e32 v7, 0xffffff80, v18
	ds_read_b64 v[7:8], v7
	s_waitcnt lgkmcnt(0)
	v_add_f32_e32 v3, v3, v7
	v_add_f32_e32 v4, v4, v8
.LBB27_22:
	s_or_b64 exec, exec, s[16:17]
.LBB27_23:
	s_or_b64 exec, exec, s[14:15]
	v_cmp_lt_u32_e64 s[14:15], 31, v0
	s_barrier
	ds_write_b64 v18, v[3:4]
	s_waitcnt lgkmcnt(0)
	s_barrier
	s_and_saveexec_b64 s[16:17], s[14:15]
	s_cbranch_execz .LBB27_27
; %bb.24:
	v_add_u32_e32 v7, 0xffffff00, v17
	ds_read_b64 v[7:8], v7
	s_waitcnt lgkmcnt(0)
	v_cmp_eq_u64_e32 vcc, v[5:6], v[7:8]
	s_and_saveexec_b64 s[18:19], vcc
	s_cbranch_execz .LBB27_26
; %bb.25:
	v_add_u32_e32 v7, 0xffffff00, v18
	ds_read_b64 v[7:8], v7
	s_waitcnt lgkmcnt(0)
	v_add_f32_e32 v3, v3, v7
	v_add_f32_e32 v4, v4, v8
.LBB27_26:
	s_or_b64 exec, exec, s[18:19]
.LBB27_27:
	;; [unrolled: 24-line block ×3, first 2 shown]
	s_or_b64 exec, exec, s[18:19]
	s_load_dwordx2 s[44:45], s[4:5], 0x38
	s_movk_i32 s18, 0x7f
	v_cmp_lt_u32_e64 s[18:19], s18, v0
	s_waitcnt lgkmcnt(0)
	s_barrier
	ds_write_b64 v18, v[3:4]
	s_waitcnt lgkmcnt(0)
	s_barrier
	s_and_saveexec_b64 s[20:21], s[18:19]
	s_cbranch_execz .LBB27_35
; %bb.32:
	v_add_u32_e32 v7, 0xfffffc00, v17
	ds_read_b64 v[7:8], v7
	s_waitcnt lgkmcnt(0)
	v_cmp_eq_u64_e32 vcc, v[5:6], v[7:8]
	s_and_saveexec_b64 s[24:25], vcc
	s_cbranch_execz .LBB27_34
; %bb.33:
	v_add_u32_e32 v7, 0xfffffc00, v18
	ds_read_b64 v[7:8], v7
	s_waitcnt lgkmcnt(0)
	v_add_f32_e32 v3, v3, v7
	v_add_f32_e32 v4, v4, v8
.LBB27_34:
	s_or_b64 exec, exec, s[24:25]
.LBB27_35:
	s_or_b64 exec, exec, s[20:21]
	s_movk_i32 s20, 0xff
	v_cmp_gt_u32_e64 s[20:21], s20, v0
	s_barrier
	ds_write_b64 v18, v[3:4]
	s_waitcnt lgkmcnt(0)
	s_barrier
	s_and_saveexec_b64 s[26:27], s[20:21]
	s_cbranch_execz .LBB27_38
; %bb.36:
	ds_read_b64 v[7:8], v17 offset:8
	v_cmp_lt_i64_e64 s[24:25], -1, v[5:6]
	s_waitcnt lgkmcnt(0)
	v_cmp_ne_u64_e32 vcc, v[5:6], v[7:8]
	s_and_b64 s[24:25], s[24:25], vcc
	s_and_b64 exec, exec, s[24:25]
	s_cbranch_execz .LBB27_38
; %bb.37:
	v_lshlrev_b64 v[7:8], 3, v[5:6]
	v_mov_b32_e32 v9, s45
	v_add_co_u32_e32 v7, vcc, s44, v7
	v_addc_co_u32_e32 v8, vcc, v9, v8, vcc
	global_load_dwordx2 v[9:10], v[7:8], off
	s_waitcnt vmcnt(0)
	v_fma_f32 v9, v1, v3, v9
	v_fmac_f32_e32 v10, v2, v3
	v_fma_f32 v9, -v2, v4, v9
	v_fmac_f32_e32 v10, v1, v4
	global_store_dwordx2 v[7:8], v[9:10], off
.LBB27_38:
	s_or_b64 exec, exec, s[26:27]
	s_load_dwordx4 s[24:27], s[4:5], 0x40
	v_cmp_lt_i64_e64 s[4:5], s[30:31], 2
	s_and_b64 vcc, exec, s[4:5]
	s_cbranch_vccnz .LBB27_85
; %bb.39:
	s_add_u32 s46, s30, -1
	s_addc_u32 s47, s31, -1
	s_ashr_i32 s35, s34, 31
	s_lshl_b64 s[4:5], s[34:35], 3
	s_sub_u32 s33, s42, s4
	s_subb_u32 s35, s43, s5
	s_mul_i32 s4, s31, s6
	s_mul_hi_u32 s5, s30, s6
	s_add_i32 s5, s5, s4
	s_mul_i32 s4, s30, s6
	s_lshl_b64 s[4:5], s[4:5], 11
	v_lshl_or_b32 v3, v0, 3, s4
	s_movk_i32 s4, 0x800
	v_mov_b32_e32 v4, s5
	v_add_co_u32_e32 v3, vcc, s4, v3
	v_addc_co_u32_e32 v4, vcc, 0, v4, vcc
	v_mov_b32_e32 v5, s39
	v_add_co_u32_e32 v7, vcc, s38, v3
	v_addc_co_u32_e32 v8, vcc, v5, v4, vcc
	;; [unrolled: 3-line block ×4, first 2 shown]
	s_movk_i32 s4, 0x100
	v_add_co_u32_e32 v11, vcc, s4, v11
	v_add_u32_e32 v23, -16, v18
	v_subrev_u32_e32 v24, 32, v18
	v_subrev_u32_e32 v25, 64, v18
	v_add_u32_e32 v26, 0xffffff80, v17
	v_add_u32_e32 v27, 0xffffff80, v18
	;; [unrolled: 1-line block ×3, first 2 shown]
	v_addc_co_u32_e32 v12, vcc, 0, v12, vcc
	v_add_u32_e32 v29, 0xffffff00, v18
	v_add_u32_e32 v30, 0xfffffe00, v17
	s_mov_b64 s[30:31], 0
	v_add_u32_e32 v31, 0xfffffe00, v18
	v_add_u32_e32 v32, 0xfffffc00, v17
	;; [unrolled: 1-line block ×3, first 2 shown]
	v_mov_b32_e32 v34, 0
	s_branch .LBB27_41
.LBB27_40:                              ;   in Loop: Header=BB27_41 Depth=1
	s_or_b64 exec, exec, s[36:37]
	v_add_co_u32_e32 v7, vcc, 0x800, v7
	v_addc_co_u32_e32 v8, vcc, 0, v8, vcc
	v_add_co_u32_e32 v9, vcc, 0x800, v9
	v_addc_co_u32_e32 v10, vcc, 0, v10, vcc
	s_add_u32 s30, s30, 1
	v_add_co_u32_e32 v13, vcc, 0x800, v13
	s_addc_u32 s31, s31, 0
	v_mov_b32_e32 v15, s30
	v_addc_co_u32_e32 v14, vcc, 0, v14, vcc
	v_mov_b32_e32 v16, s31
	v_add_co_u32_e32 v11, vcc, 0x100, v11
	v_cmp_le_u64_e64 s[4:5], s[46:47], v[15:16]
	v_addc_co_u32_e32 v12, vcc, 0, v12, vcc
	s_and_b64 vcc, exec, s[4:5]
	s_cbranch_vccnz .LBB27_85
.LBB27_41:                              ; =>This Inner Loop Header: Depth=1
	v_cmp_gt_i64_e32 vcc, s[28:29], v[11:12]
	v_mov_b32_e32 v5, -1
	v_mov_b32_e32 v6, -1
	v_mov_b32_e32 v3, 0
	v_mov_b32_e32 v4, 0
	s_and_saveexec_b64 s[4:5], vcc
	s_cbranch_execz .LBB27_43
; %bb.42:                               ;   in Loop: Header=BB27_41 Depth=1
	global_load_dwordx2 v[3:4], v[7:8], off glc slc
	global_load_dwordx2 v[5:6], v[13:14], off glc slc
	;; [unrolled: 1-line block ×3, first 2 shown]
	v_mov_b32_e32 v35, s35
	s_waitcnt vmcnt(2)
	v_lshlrev_b64 v[3:4], 3, v[3:4]
	v_add_co_u32_e32 v3, vcc, s33, v3
	v_addc_co_u32_e32 v4, vcc, v35, v4, vcc
	global_load_dwordx2 v[35:36], v[3:4], off
	s_waitcnt vmcnt(2)
	v_subrev_co_u32_e32 v5, vcc, s34, v5
	v_subbrev_co_u32_e32 v6, vcc, 0, v6, vcc
	s_waitcnt vmcnt(0)
	v_mul_f32_e64 v3, v36, -v16
	v_mul_f32_e32 v4, v15, v36
	v_fmac_f32_e32 v3, v15, v35
	v_fmac_f32_e32 v4, v16, v35
.LBB27_43:                              ;   in Loop: Header=BB27_41 Depth=1
	s_or_b64 exec, exec, s[4:5]
	s_and_saveexec_b64 s[4:5], s[0:1]
	s_cbranch_execz .LBB27_50
; %bb.44:                               ;   in Loop: Header=BB27_41 Depth=1
	ds_read_b64 v[15:16], v34 offset:2040
	s_waitcnt lgkmcnt(0)
	v_cmp_ne_u64_e32 vcc, v[5:6], v[15:16]
	s_and_saveexec_b64 s[36:37], vcc
	s_xor_b64 s[36:37], exec, s[36:37]
	s_cbranch_execz .LBB27_47
; %bb.45:                               ;   in Loop: Header=BB27_41 Depth=1
	v_cmp_gt_i64_e32 vcc, 0, v[15:16]
	s_cbranch_vccnz .LBB27_47
; %bb.46:                               ;   in Loop: Header=BB27_41 Depth=1
	v_lshlrev_b64 v[15:16], 3, v[15:16]
	v_mov_b32_e32 v35, s45
	v_add_co_u32_e32 v15, vcc, s44, v15
	v_addc_co_u32_e32 v16, vcc, v35, v16, vcc
	global_load_dwordx2 v[35:36], v[15:16], off
	ds_read_b64 v[37:38], v34 offset:4088
	s_waitcnt vmcnt(0) lgkmcnt(0)
	v_fma_f32 v35, v1, v37, v35
	v_fmac_f32_e32 v36, v2, v37
	v_fma_f32 v35, -v2, v38, v35
	v_fmac_f32_e32 v36, v1, v38
	global_store_dwordx2 v[15:16], v[35:36], off
.LBB27_47:                              ;   in Loop: Header=BB27_41 Depth=1
	s_andn2_saveexec_b64 s[36:37], s[36:37]
	s_cbranch_execz .LBB27_49
; %bb.48:                               ;   in Loop: Header=BB27_41 Depth=1
	ds_read_b64 v[15:16], v34 offset:4088
	s_waitcnt lgkmcnt(0)
	v_add_f32_e32 v3, v3, v15
	v_add_f32_e32 v4, v4, v16
.LBB27_49:                              ;   in Loop: Header=BB27_41 Depth=1
	s_or_b64 exec, exec, s[36:37]
.LBB27_50:                              ;   in Loop: Header=BB27_41 Depth=1
	s_or_b64 exec, exec, s[4:5]
	s_waitcnt vmcnt(0) lgkmcnt(0)
	s_barrier
	ds_write_b64 v17, v[5:6]
	ds_write_b64 v18, v[3:4]
	s_waitcnt lgkmcnt(0)
	s_barrier
	s_and_saveexec_b64 s[4:5], s[2:3]
	s_cbranch_execz .LBB27_54
; %bb.51:                               ;   in Loop: Header=BB27_41 Depth=1
	ds_read_b64 v[15:16], v19
	s_waitcnt lgkmcnt(0)
	v_cmp_eq_u64_e32 vcc, v[5:6], v[15:16]
	s_and_saveexec_b64 s[36:37], vcc
	s_cbranch_execz .LBB27_53
; %bb.52:                               ;   in Loop: Header=BB27_41 Depth=1
	v_add_u32_e32 v15, -8, v18
	ds_read_b64 v[15:16], v15
	s_waitcnt lgkmcnt(0)
	v_add_f32_e32 v3, v3, v15
	v_add_f32_e32 v4, v4, v16
.LBB27_53:                              ;   in Loop: Header=BB27_41 Depth=1
	s_or_b64 exec, exec, s[36:37]
.LBB27_54:                              ;   in Loop: Header=BB27_41 Depth=1
	s_or_b64 exec, exec, s[4:5]
	s_barrier
	ds_write_b64 v18, v[3:4]
	s_waitcnt lgkmcnt(0)
	s_barrier
	s_and_saveexec_b64 s[4:5], s[22:23]
	s_cbranch_execz .LBB27_58
; %bb.55:                               ;   in Loop: Header=BB27_41 Depth=1
	ds_read_b64 v[15:16], v20
	s_waitcnt lgkmcnt(0)
	v_cmp_eq_u64_e32 vcc, v[5:6], v[15:16]
	s_and_saveexec_b64 s[36:37], vcc
	s_cbranch_execz .LBB27_57
; %bb.56:                               ;   in Loop: Header=BB27_41 Depth=1
	ds_read_b64 v[15:16], v23
	s_waitcnt lgkmcnt(0)
	v_add_f32_e32 v3, v3, v15
	v_add_f32_e32 v4, v4, v16
.LBB27_57:                              ;   in Loop: Header=BB27_41 Depth=1
	s_or_b64 exec, exec, s[36:37]
.LBB27_58:                              ;   in Loop: Header=BB27_41 Depth=1
	s_or_b64 exec, exec, s[4:5]
	s_barrier
	ds_write_b64 v18, v[3:4]
	s_waitcnt lgkmcnt(0)
	s_barrier
	s_and_saveexec_b64 s[4:5], s[8:9]
	s_cbranch_execz .LBB27_62
; %bb.59:                               ;   in Loop: Header=BB27_41 Depth=1
	ds_read_b64 v[15:16], v21
	s_waitcnt lgkmcnt(0)
	v_cmp_eq_u64_e32 vcc, v[5:6], v[15:16]
	s_and_saveexec_b64 s[36:37], vcc
	s_cbranch_execz .LBB27_61
; %bb.60:                               ;   in Loop: Header=BB27_41 Depth=1
	ds_read_b64 v[15:16], v24
	s_waitcnt lgkmcnt(0)
	v_add_f32_e32 v3, v3, v15
	v_add_f32_e32 v4, v4, v16
.LBB27_61:                              ;   in Loop: Header=BB27_41 Depth=1
	s_or_b64 exec, exec, s[36:37]
.LBB27_62:                              ;   in Loop: Header=BB27_41 Depth=1
	s_or_b64 exec, exec, s[4:5]
	s_barrier
	ds_write_b64 v18, v[3:4]
	s_waitcnt lgkmcnt(0)
	s_barrier
	s_and_saveexec_b64 s[4:5], s[10:11]
	s_cbranch_execz .LBB27_66
; %bb.63:                               ;   in Loop: Header=BB27_41 Depth=1
	ds_read_b64 v[15:16], v22
	s_waitcnt lgkmcnt(0)
	v_cmp_eq_u64_e32 vcc, v[5:6], v[15:16]
	s_and_saveexec_b64 s[36:37], vcc
	s_cbranch_execz .LBB27_65
; %bb.64:                               ;   in Loop: Header=BB27_41 Depth=1
	ds_read_b64 v[15:16], v25
	s_waitcnt lgkmcnt(0)
	v_add_f32_e32 v3, v3, v15
	v_add_f32_e32 v4, v4, v16
.LBB27_65:                              ;   in Loop: Header=BB27_41 Depth=1
	s_or_b64 exec, exec, s[36:37]
.LBB27_66:                              ;   in Loop: Header=BB27_41 Depth=1
	s_or_b64 exec, exec, s[4:5]
	s_barrier
	ds_write_b64 v18, v[3:4]
	s_waitcnt lgkmcnt(0)
	s_barrier
	s_and_saveexec_b64 s[4:5], s[12:13]
	s_cbranch_execz .LBB27_70
; %bb.67:                               ;   in Loop: Header=BB27_41 Depth=1
	ds_read_b64 v[15:16], v26
	s_waitcnt lgkmcnt(0)
	v_cmp_eq_u64_e32 vcc, v[5:6], v[15:16]
	s_and_saveexec_b64 s[36:37], vcc
	s_cbranch_execz .LBB27_69
; %bb.68:                               ;   in Loop: Header=BB27_41 Depth=1
	ds_read_b64 v[15:16], v27
	s_waitcnt lgkmcnt(0)
	v_add_f32_e32 v3, v3, v15
	v_add_f32_e32 v4, v4, v16
.LBB27_69:                              ;   in Loop: Header=BB27_41 Depth=1
	s_or_b64 exec, exec, s[36:37]
.LBB27_70:                              ;   in Loop: Header=BB27_41 Depth=1
	s_or_b64 exec, exec, s[4:5]
	s_barrier
	ds_write_b64 v18, v[3:4]
	s_waitcnt lgkmcnt(0)
	s_barrier
	s_and_saveexec_b64 s[4:5], s[14:15]
	s_cbranch_execz .LBB27_74
; %bb.71:                               ;   in Loop: Header=BB27_41 Depth=1
	ds_read_b64 v[15:16], v28
	s_waitcnt lgkmcnt(0)
	v_cmp_eq_u64_e32 vcc, v[5:6], v[15:16]
	s_and_saveexec_b64 s[36:37], vcc
	s_cbranch_execz .LBB27_73
; %bb.72:                               ;   in Loop: Header=BB27_41 Depth=1
	ds_read_b64 v[15:16], v29
	s_waitcnt lgkmcnt(0)
	v_add_f32_e32 v3, v3, v15
	v_add_f32_e32 v4, v4, v16
.LBB27_73:                              ;   in Loop: Header=BB27_41 Depth=1
	s_or_b64 exec, exec, s[36:37]
.LBB27_74:                              ;   in Loop: Header=BB27_41 Depth=1
	s_or_b64 exec, exec, s[4:5]
	s_barrier
	ds_write_b64 v18, v[3:4]
	s_waitcnt lgkmcnt(0)
	s_barrier
	s_and_saveexec_b64 s[4:5], s[16:17]
	s_cbranch_execz .LBB27_78
; %bb.75:                               ;   in Loop: Header=BB27_41 Depth=1
	ds_read_b64 v[15:16], v30
	s_waitcnt lgkmcnt(0)
	v_cmp_eq_u64_e32 vcc, v[5:6], v[15:16]
	s_and_saveexec_b64 s[36:37], vcc
	s_cbranch_execz .LBB27_77
; %bb.76:                               ;   in Loop: Header=BB27_41 Depth=1
	ds_read_b64 v[15:16], v31
	s_waitcnt lgkmcnt(0)
	v_add_f32_e32 v3, v3, v15
	v_add_f32_e32 v4, v4, v16
.LBB27_77:                              ;   in Loop: Header=BB27_41 Depth=1
	s_or_b64 exec, exec, s[36:37]
.LBB27_78:                              ;   in Loop: Header=BB27_41 Depth=1
	s_or_b64 exec, exec, s[4:5]
	s_barrier
	ds_write_b64 v18, v[3:4]
	s_waitcnt lgkmcnt(0)
	s_barrier
	s_and_saveexec_b64 s[4:5], s[18:19]
	s_cbranch_execz .LBB27_82
; %bb.79:                               ;   in Loop: Header=BB27_41 Depth=1
	ds_read_b64 v[15:16], v32
	s_waitcnt lgkmcnt(0)
	v_cmp_eq_u64_e32 vcc, v[5:6], v[15:16]
	s_and_saveexec_b64 s[36:37], vcc
	s_cbranch_execz .LBB27_81
; %bb.80:                               ;   in Loop: Header=BB27_41 Depth=1
	ds_read_b64 v[15:16], v33
	s_waitcnt lgkmcnt(0)
	v_add_f32_e32 v3, v3, v15
	v_add_f32_e32 v4, v4, v16
.LBB27_81:                              ;   in Loop: Header=BB27_41 Depth=1
	s_or_b64 exec, exec, s[36:37]
.LBB27_82:                              ;   in Loop: Header=BB27_41 Depth=1
	s_or_b64 exec, exec, s[4:5]
	s_barrier
	ds_write_b64 v18, v[3:4]
	s_waitcnt lgkmcnt(0)
	s_barrier
	s_and_saveexec_b64 s[36:37], s[20:21]
	s_cbranch_execz .LBB27_40
; %bb.83:                               ;   in Loop: Header=BB27_41 Depth=1
	ds_read_b64 v[15:16], v17 offset:8
	v_cmp_lt_i64_e64 s[4:5], -1, v[5:6]
	s_waitcnt lgkmcnt(0)
	v_cmp_ne_u64_e32 vcc, v[5:6], v[15:16]
	s_and_b64 s[4:5], s[4:5], vcc
	s_and_b64 exec, exec, s[4:5]
	s_cbranch_execz .LBB27_40
; %bb.84:                               ;   in Loop: Header=BB27_41 Depth=1
	v_lshlrev_b64 v[15:16], 3, v[5:6]
	v_mov_b32_e32 v35, s45
	v_add_co_u32_e32 v15, vcc, s44, v15
	v_addc_co_u32_e32 v16, vcc, v35, v16, vcc
	global_load_dwordx2 v[35:36], v[15:16], off
	s_waitcnt vmcnt(0)
	v_fma_f32 v35, v1, v3, v35
	v_fmac_f32_e32 v36, v2, v3
	v_fma_f32 v35, -v2, v4, v35
	v_fmac_f32_e32 v36, v1, v4
	global_store_dwordx2 v[15:16], v[35:36], off
	s_branch .LBB27_40
.LBB27_85:
	s_movk_i32 s0, 0xff
	v_cmp_eq_u32_e32 vcc, s0, v0
	s_and_b64 exec, exec, vcc
	s_cbranch_execz .LBB27_87
; %bb.86:
	s_lshl_b64 s[0:1], s[6:7], 3
	s_waitcnt lgkmcnt(0)
	s_add_u32 s2, s26, s0
	s_addc_u32 s3, s27, s1
	s_add_u32 s0, s24, s0
	v_mov_b32_e32 v0, 0
	v_mul_f32_e32 v8, v1, v4
	v_mul_f32_e64 v7, v4, -v2
	s_addc_u32 s1, s25, s1
	v_fmac_f32_e32 v8, v2, v3
	v_fmac_f32_e32 v7, v1, v3
	global_store_dwordx2 v0, v[5:6], s[0:1] glc slc
	global_store_dwordx2 v0, v[7:8], s[2:3] glc slc
.LBB27_87:
	s_endpgm
	.section	.rodata,"a",@progbits
	.p2align	6, 0x0
	.amdhsa_kernel _ZN9rocsparseL22coomvn_segmented_loopsILj256El21rocsparse_complex_numIfES2_S2_S2_EEvlT0_NS_24const_host_device_scalarIT4_EEPKS3_S8_PKT1_PKT2_PT3_PS3_PS5_21rocsparse_index_base_b
		.amdhsa_group_segment_fixed_size 4096
		.amdhsa_private_segment_fixed_size 0
		.amdhsa_kernarg_size 88
		.amdhsa_user_sgpr_count 6
		.amdhsa_user_sgpr_private_segment_buffer 1
		.amdhsa_user_sgpr_dispatch_ptr 0
		.amdhsa_user_sgpr_queue_ptr 0
		.amdhsa_user_sgpr_kernarg_segment_ptr 1
		.amdhsa_user_sgpr_dispatch_id 0
		.amdhsa_user_sgpr_flat_scratch_init 0
		.amdhsa_user_sgpr_private_segment_size 0
		.amdhsa_uses_dynamic_stack 0
		.amdhsa_system_sgpr_private_segment_wavefront_offset 0
		.amdhsa_system_sgpr_workgroup_id_x 1
		.amdhsa_system_sgpr_workgroup_id_y 0
		.amdhsa_system_sgpr_workgroup_id_z 0
		.amdhsa_system_sgpr_workgroup_info 0
		.amdhsa_system_vgpr_workitem_id 0
		.amdhsa_next_free_vgpr 39
		.amdhsa_next_free_sgpr 48
		.amdhsa_reserve_vcc 1
		.amdhsa_reserve_flat_scratch 0
		.amdhsa_float_round_mode_32 0
		.amdhsa_float_round_mode_16_64 0
		.amdhsa_float_denorm_mode_32 3
		.amdhsa_float_denorm_mode_16_64 3
		.amdhsa_dx10_clamp 1
		.amdhsa_ieee_mode 1
		.amdhsa_fp16_overflow 0
		.amdhsa_exception_fp_ieee_invalid_op 0
		.amdhsa_exception_fp_denorm_src 0
		.amdhsa_exception_fp_ieee_div_zero 0
		.amdhsa_exception_fp_ieee_overflow 0
		.amdhsa_exception_fp_ieee_underflow 0
		.amdhsa_exception_fp_ieee_inexact 0
		.amdhsa_exception_int_div_zero 0
	.end_amdhsa_kernel
	.section	.text._ZN9rocsparseL22coomvn_segmented_loopsILj256El21rocsparse_complex_numIfES2_S2_S2_EEvlT0_NS_24const_host_device_scalarIT4_EEPKS3_S8_PKT1_PKT2_PT3_PS3_PS5_21rocsparse_index_base_b,"axG",@progbits,_ZN9rocsparseL22coomvn_segmented_loopsILj256El21rocsparse_complex_numIfES2_S2_S2_EEvlT0_NS_24const_host_device_scalarIT4_EEPKS3_S8_PKT1_PKT2_PT3_PS3_PS5_21rocsparse_index_base_b,comdat
.Lfunc_end27:
	.size	_ZN9rocsparseL22coomvn_segmented_loopsILj256El21rocsparse_complex_numIfES2_S2_S2_EEvlT0_NS_24const_host_device_scalarIT4_EEPKS3_S8_PKT1_PKT2_PT3_PS3_PS5_21rocsparse_index_base_b, .Lfunc_end27-_ZN9rocsparseL22coomvn_segmented_loopsILj256El21rocsparse_complex_numIfES2_S2_S2_EEvlT0_NS_24const_host_device_scalarIT4_EEPKS3_S8_PKT1_PKT2_PT3_PS3_PS5_21rocsparse_index_base_b
                                        ; -- End function
	.set _ZN9rocsparseL22coomvn_segmented_loopsILj256El21rocsparse_complex_numIfES2_S2_S2_EEvlT0_NS_24const_host_device_scalarIT4_EEPKS3_S8_PKT1_PKT2_PT3_PS3_PS5_21rocsparse_index_base_b.num_vgpr, 39
	.set _ZN9rocsparseL22coomvn_segmented_loopsILj256El21rocsparse_complex_numIfES2_S2_S2_EEvlT0_NS_24const_host_device_scalarIT4_EEPKS3_S8_PKT1_PKT2_PT3_PS3_PS5_21rocsparse_index_base_b.num_agpr, 0
	.set _ZN9rocsparseL22coomvn_segmented_loopsILj256El21rocsparse_complex_numIfES2_S2_S2_EEvlT0_NS_24const_host_device_scalarIT4_EEPKS3_S8_PKT1_PKT2_PT3_PS3_PS5_21rocsparse_index_base_b.numbered_sgpr, 48
	.set _ZN9rocsparseL22coomvn_segmented_loopsILj256El21rocsparse_complex_numIfES2_S2_S2_EEvlT0_NS_24const_host_device_scalarIT4_EEPKS3_S8_PKT1_PKT2_PT3_PS3_PS5_21rocsparse_index_base_b.num_named_barrier, 0
	.set _ZN9rocsparseL22coomvn_segmented_loopsILj256El21rocsparse_complex_numIfES2_S2_S2_EEvlT0_NS_24const_host_device_scalarIT4_EEPKS3_S8_PKT1_PKT2_PT3_PS3_PS5_21rocsparse_index_base_b.private_seg_size, 0
	.set _ZN9rocsparseL22coomvn_segmented_loopsILj256El21rocsparse_complex_numIfES2_S2_S2_EEvlT0_NS_24const_host_device_scalarIT4_EEPKS3_S8_PKT1_PKT2_PT3_PS3_PS5_21rocsparse_index_base_b.uses_vcc, 1
	.set _ZN9rocsparseL22coomvn_segmented_loopsILj256El21rocsparse_complex_numIfES2_S2_S2_EEvlT0_NS_24const_host_device_scalarIT4_EEPKS3_S8_PKT1_PKT2_PT3_PS3_PS5_21rocsparse_index_base_b.uses_flat_scratch, 0
	.set _ZN9rocsparseL22coomvn_segmented_loopsILj256El21rocsparse_complex_numIfES2_S2_S2_EEvlT0_NS_24const_host_device_scalarIT4_EEPKS3_S8_PKT1_PKT2_PT3_PS3_PS5_21rocsparse_index_base_b.has_dyn_sized_stack, 0
	.set _ZN9rocsparseL22coomvn_segmented_loopsILj256El21rocsparse_complex_numIfES2_S2_S2_EEvlT0_NS_24const_host_device_scalarIT4_EEPKS3_S8_PKT1_PKT2_PT3_PS3_PS5_21rocsparse_index_base_b.has_recursion, 0
	.set _ZN9rocsparseL22coomvn_segmented_loopsILj256El21rocsparse_complex_numIfES2_S2_S2_EEvlT0_NS_24const_host_device_scalarIT4_EEPKS3_S8_PKT1_PKT2_PT3_PS3_PS5_21rocsparse_index_base_b.has_indirect_call, 0
	.section	.AMDGPU.csdata,"",@progbits
; Kernel info:
; codeLenInByte = 2760
; TotalNumSgprs: 52
; NumVgprs: 39
; ScratchSize: 0
; MemoryBound: 0
; FloatMode: 240
; IeeeMode: 1
; LDSByteSize: 4096 bytes/workgroup (compile time only)
; SGPRBlocks: 6
; VGPRBlocks: 9
; NumSGPRsForWavesPerEU: 52
; NumVGPRsForWavesPerEU: 39
; Occupancy: 6
; WaveLimiterHint : 1
; COMPUTE_PGM_RSRC2:SCRATCH_EN: 0
; COMPUTE_PGM_RSRC2:USER_SGPR: 6
; COMPUTE_PGM_RSRC2:TRAP_HANDLER: 0
; COMPUTE_PGM_RSRC2:TGID_X_EN: 1
; COMPUTE_PGM_RSRC2:TGID_Y_EN: 0
; COMPUTE_PGM_RSRC2:TGID_Z_EN: 0
; COMPUTE_PGM_RSRC2:TIDIG_COMP_CNT: 0
	.section	.text._ZN9rocsparseL29coomvn_segmented_loops_reduceILj256El21rocsparse_complex_numIfES2_EEvT0_NS_24const_host_device_scalarIT2_EEPKS3_PKS5_PT1_b,"axG",@progbits,_ZN9rocsparseL29coomvn_segmented_loops_reduceILj256El21rocsparse_complex_numIfES2_EEvT0_NS_24const_host_device_scalarIT2_EEPKS3_PKS5_PT1_b,comdat
	.globl	_ZN9rocsparseL29coomvn_segmented_loops_reduceILj256El21rocsparse_complex_numIfES2_EEvT0_NS_24const_host_device_scalarIT2_EEPKS3_PKS5_PT1_b ; -- Begin function _ZN9rocsparseL29coomvn_segmented_loops_reduceILj256El21rocsparse_complex_numIfES2_EEvT0_NS_24const_host_device_scalarIT2_EEPKS3_PKS5_PT1_b
	.p2align	8
	.type	_ZN9rocsparseL29coomvn_segmented_loops_reduceILj256El21rocsparse_complex_numIfES2_EEvT0_NS_24const_host_device_scalarIT2_EEPKS3_PKS5_PT1_b,@function
_ZN9rocsparseL29coomvn_segmented_loops_reduceILj256El21rocsparse_complex_numIfES2_EEvT0_NS_24const_host_device_scalarIT2_EEPKS3_PKS5_PT1_b: ; @_ZN9rocsparseL29coomvn_segmented_loops_reduceILj256El21rocsparse_complex_numIfES2_EEvT0_NS_24const_host_device_scalarIT2_EEPKS3_PKS5_PT1_b
; %bb.0:
	s_load_dword s0, s[4:5], 0x28
	s_load_dwordx4 s[8:11], s[4:5], 0x0
	s_or_b32 s1, s4, 8
	s_waitcnt lgkmcnt(0)
	s_bitcmp1_b32 s0, 0
	s_cselect_b32 s0, s5, s11
	s_cselect_b32 s1, s1, s10
	v_mov_b32_e32 v1, s1
	v_mov_b32_e32 v2, s0
	flat_load_dwordx2 v[1:2], v[1:2]
	s_waitcnt vmcnt(0) lgkmcnt(0)
	v_cmp_neq_f32_e32 vcc, 0, v1
	v_cmp_neq_f32_e64 s[0:1], 0, v2
	s_or_b64 s[0:1], vcc, s[0:1]
	s_and_saveexec_b64 s[2:3], s[0:1]
	s_cbranch_execz .LBB28_42
; %bb.1:
	v_cmp_lt_i64_e64 s[0:1], s[8:9], 1
	s_and_b64 vcc, exec, s[0:1]
	s_cbranch_vccnz .LBB28_42
; %bb.2:
	v_subrev_co_u32_e32 v1, vcc, 1, v0
	v_mov_b32_e32 v2, 0x800
	s_xor_b64 s[10:11], vcc, -1
	v_lshl_add_u32 v11, v1, 3, v2
	v_subrev_co_u32_e32 v1, vcc, 2, v0
	s_xor_b64 s[16:17], vcc, -1
	v_lshl_add_u32 v12, v1, 3, v2
	v_subrev_co_u32_e32 v1, vcc, 4, v0
	;; [unrolled: 3-line block ×3, first 2 shown]
	s_load_dwordx4 s[12:15], s[4:5], 0x10
	s_load_dwordx2 s[6:7], s[4:5], 0x20
	s_xor_b64 s[20:21], vcc, -1
	v_lshl_add_u32 v16, v1, 3, v2
	v_subrev_co_u32_e32 v1, vcc, 16, v0
	s_xor_b64 s[22:23], vcc, -1
	v_lshl_add_u32 v17, v1, 3, v2
	v_subrev_co_u32_e32 v1, vcc, 32, v0
	v_lshl_add_u32 v18, v1, 3, v2
	v_subrev_co_u32_e64 v1, s[0:1], 64, v0
	s_movk_i32 s2, 0x80
	v_lshlrev_b32_e32 v9, 3, v0
	v_lshl_add_u32 v19, v1, 3, v2
	v_subrev_co_u32_e64 v1, s[2:3], s2, v0
	v_lshl_add_u32 v20, v1, 3, v2
	s_waitcnt lgkmcnt(0)
	v_mov_b32_e32 v1, s15
	v_add_co_u32_e64 v2, s[4:5], s14, v9
	v_addc_co_u32_e64 v3, s[4:5], 0, v1, s[4:5]
	v_add_co_u32_e64 v1, s[4:5], 4, v2
	v_addc_co_u32_e64 v2, s[4:5], 0, v3, s[4:5]
	v_mov_b32_e32 v4, s13
	v_add_co_u32_e64 v3, s[4:5], s12, v9
	v_addc_co_u32_e64 v4, s[4:5], 0, v4, s[4:5]
	s_xor_b64 s[12:13], s[0:1], -1
	s_movk_i32 s0, 0xff
	v_or_b32_e32 v10, 0x800, v9
	v_subrev_u32_e32 v13, 32, v9
	v_subrev_u32_e32 v15, 64, v9
	v_add_u32_e32 v21, 0xffffff80, v9
	s_xor_b64 s[4:5], vcc, -1
	s_xor_b64 s[14:15], s[2:3], -1
	v_cmp_gt_u32_e64 s[0:1], s0, v0
	s_mov_b64 s[24:25], 0
	v_add_u32_e32 v22, 0xffffff00, v9
	v_add_u32_e32 v23, 0xfffffe00, v9
	;; [unrolled: 1-line block ×3, first 2 shown]
	s_branch .LBB28_4
.LBB28_3:                               ;   in Loop: Header=BB28_4 Depth=1
	s_or_b64 exec, exec, s[2:3]
	s_add_u32 s24, s24, 0x100
	v_add_co_u32_e32 v1, vcc, 0x800, v1
	v_mov_b32_e32 v5, s8
	s_addc_u32 s25, s25, 0
	v_addc_co_u32_e32 v2, vcc, 0, v2, vcc
	v_mov_b32_e32 v6, s9
	v_add_co_u32_e32 v3, vcc, 0x800, v3
	v_cmp_lt_i64_e64 s[2:3], s[24:25], v[5:6]
	v_addc_co_u32_e32 v4, vcc, 0, v4, vcc
	s_and_b64 vcc, exec, s[2:3]
	s_waitcnt vmcnt(0)
	s_barrier
	s_cbranch_vccz .LBB28_42
.LBB28_4:                               ; =>This Inner Loop Header: Depth=1
	v_mov_b32_e32 v6, s25
	v_add_co_u32_e32 v5, vcc, s24, v0
	v_addc_co_u32_e32 v6, vcc, 0, v6, vcc
	v_cmp_gt_i64_e32 vcc, s[8:9], v[5:6]
	v_mov_b32_e32 v7, -1
	v_mov_b32_e32 v8, -1
	v_mov_b32_e32 v6, 0
	v_mov_b32_e32 v5, 0
	s_and_saveexec_b64 s[2:3], vcc
	s_cbranch_execz .LBB28_6
; %bb.5:                                ;   in Loop: Header=BB28_4 Depth=1
	global_load_dwordx2 v[7:8], v[3:4], off
	global_load_dwordx2 v[5:6], v[1:2], off offset:-4
.LBB28_6:                               ;   in Loop: Header=BB28_4 Depth=1
	s_or_b64 exec, exec, s[2:3]
	s_waitcnt vmcnt(1)
	ds_write_b64 v9, v[7:8]
	s_waitcnt vmcnt(0)
	ds_write_b64 v10, v[5:6]
	v_mov_b32_e32 v6, 0
	v_mov_b32_e32 v8, 0
	;; [unrolled: 1-line block ×3, first 2 shown]
	s_waitcnt lgkmcnt(0)
	s_barrier
	s_and_saveexec_b64 s[2:3], s[10:11]
	s_cbranch_execz .LBB28_10
; %bb.7:                                ;   in Loop: Header=BB28_4 Depth=1
	v_add_u32_e32 v5, -8, v9
	ds_read2_b64 v[25:28], v5 offset1:1
	v_mov_b32_e32 v7, 0
	v_mov_b32_e32 v8, 0
	s_waitcnt lgkmcnt(0)
	v_cmp_eq_u64_e32 vcc, v[27:28], v[25:26]
	s_and_saveexec_b64 s[26:27], vcc
; %bb.8:                                ;   in Loop: Header=BB28_4 Depth=1
	ds_read_b64 v[7:8], v11
; %bb.9:                                ;   in Loop: Header=BB28_4 Depth=1
	s_or_b64 exec, exec, s[26:27]
.LBB28_10:                              ;   in Loop: Header=BB28_4 Depth=1
	s_or_b64 exec, exec, s[2:3]
	s_waitcnt lgkmcnt(0)
	s_barrier
	ds_read_b64 v[25:26], v10
	v_mov_b32_e32 v5, 0
	s_waitcnt lgkmcnt(0)
	v_add_f32_e32 v7, v7, v25
	v_add_f32_e32 v8, v8, v26
	ds_write_b64 v10, v[7:8]
	s_waitcnt lgkmcnt(0)
	s_barrier
	s_and_saveexec_b64 s[2:3], s[16:17]
	s_cbranch_execz .LBB28_14
; %bb.11:                               ;   in Loop: Header=BB28_4 Depth=1
	v_add_u32_e32 v7, -16, v9
	ds_read_b64 v[5:6], v9
	ds_read_b64 v[7:8], v7
	s_waitcnt lgkmcnt(0)
	v_cmp_eq_u64_e32 vcc, v[5:6], v[7:8]
	v_mov_b32_e32 v5, 0
	v_mov_b32_e32 v6, 0
	s_and_saveexec_b64 s[26:27], vcc
; %bb.12:                               ;   in Loop: Header=BB28_4 Depth=1
	ds_read_b64 v[5:6], v12
; %bb.13:                               ;   in Loop: Header=BB28_4 Depth=1
	s_or_b64 exec, exec, s[26:27]
.LBB28_14:                              ;   in Loop: Header=BB28_4 Depth=1
	s_or_b64 exec, exec, s[2:3]
	s_waitcnt lgkmcnt(0)
	s_barrier
	ds_read_b64 v[7:8], v10
	s_waitcnt lgkmcnt(0)
	v_add_f32_e32 v5, v5, v7
	v_add_f32_e32 v6, v6, v8
	ds_write_b64 v10, v[5:6]
	v_mov_b32_e32 v6, 0
	v_mov_b32_e32 v8, 0
	v_mov_b32_e32 v7, 0
	s_waitcnt lgkmcnt(0)
	s_barrier
	s_and_saveexec_b64 s[2:3], s[18:19]
	s_cbranch_execz .LBB28_18
; %bb.15:                               ;   in Loop: Header=BB28_4 Depth=1
	ds_read_b64 v[7:8], v9
	ds_read_b64 v[25:26], v13
	s_waitcnt lgkmcnt(0)
	v_cmp_eq_u64_e32 vcc, v[7:8], v[25:26]
	v_mov_b32_e32 v7, 0
	v_mov_b32_e32 v8, 0
	s_and_saveexec_b64 s[26:27], vcc
; %bb.16:                               ;   in Loop: Header=BB28_4 Depth=1
	ds_read_b64 v[7:8], v14
; %bb.17:                               ;   in Loop: Header=BB28_4 Depth=1
	s_or_b64 exec, exec, s[26:27]
.LBB28_18:                              ;   in Loop: Header=BB28_4 Depth=1
	s_or_b64 exec, exec, s[2:3]
	s_waitcnt lgkmcnt(0)
	s_barrier
	ds_read_b64 v[25:26], v10
	v_mov_b32_e32 v5, 0
	s_waitcnt lgkmcnt(0)
	v_add_f32_e32 v7, v7, v25
	v_add_f32_e32 v8, v8, v26
	ds_write_b64 v10, v[7:8]
	s_waitcnt lgkmcnt(0)
	s_barrier
	s_and_saveexec_b64 s[2:3], s[20:21]
	s_cbranch_execz .LBB28_22
; %bb.19:                               ;   in Loop: Header=BB28_4 Depth=1
	ds_read_b64 v[5:6], v9
	ds_read_b64 v[7:8], v15
	s_waitcnt lgkmcnt(0)
	v_cmp_eq_u64_e32 vcc, v[5:6], v[7:8]
	v_mov_b32_e32 v5, 0
	v_mov_b32_e32 v6, 0
	s_and_saveexec_b64 s[26:27], vcc
; %bb.20:                               ;   in Loop: Header=BB28_4 Depth=1
	ds_read_b64 v[5:6], v16
; %bb.21:                               ;   in Loop: Header=BB28_4 Depth=1
	s_or_b64 exec, exec, s[26:27]
.LBB28_22:                              ;   in Loop: Header=BB28_4 Depth=1
	s_or_b64 exec, exec, s[2:3]
	s_waitcnt lgkmcnt(0)
	s_barrier
	ds_read_b64 v[7:8], v10
	s_waitcnt lgkmcnt(0)
	v_add_f32_e32 v5, v5, v7
	v_add_f32_e32 v6, v6, v8
	ds_write_b64 v10, v[5:6]
	v_mov_b32_e32 v6, 0
	v_mov_b32_e32 v8, 0
	v_mov_b32_e32 v7, 0
	s_waitcnt lgkmcnt(0)
	s_barrier
	s_and_saveexec_b64 s[2:3], s[22:23]
	s_cbranch_execz .LBB28_26
; %bb.23:                               ;   in Loop: Header=BB28_4 Depth=1
	ds_read_b64 v[7:8], v9
	ds_read_b64 v[25:26], v21
	s_waitcnt lgkmcnt(0)
	v_cmp_eq_u64_e32 vcc, v[7:8], v[25:26]
	v_mov_b32_e32 v7, 0
	v_mov_b32_e32 v8, 0
	s_and_saveexec_b64 s[26:27], vcc
; %bb.24:                               ;   in Loop: Header=BB28_4 Depth=1
	ds_read_b64 v[7:8], v17
; %bb.25:                               ;   in Loop: Header=BB28_4 Depth=1
	s_or_b64 exec, exec, s[26:27]
.LBB28_26:                              ;   in Loop: Header=BB28_4 Depth=1
	s_or_b64 exec, exec, s[2:3]
	s_waitcnt lgkmcnt(0)
	s_barrier
	ds_read_b64 v[25:26], v10
	v_mov_b32_e32 v5, 0
	s_waitcnt lgkmcnt(0)
	v_add_f32_e32 v7, v7, v25
	v_add_f32_e32 v8, v8, v26
	ds_write_b64 v10, v[7:8]
	s_waitcnt lgkmcnt(0)
	s_barrier
	s_and_saveexec_b64 s[2:3], s[4:5]
	s_cbranch_execz .LBB28_30
; %bb.27:                               ;   in Loop: Header=BB28_4 Depth=1
	ds_read_b64 v[5:6], v9
	ds_read_b64 v[7:8], v22
	s_waitcnt lgkmcnt(0)
	v_cmp_eq_u64_e32 vcc, v[5:6], v[7:8]
	v_mov_b32_e32 v5, 0
	v_mov_b32_e32 v6, 0
	s_and_saveexec_b64 s[26:27], vcc
; %bb.28:                               ;   in Loop: Header=BB28_4 Depth=1
	ds_read_b64 v[5:6], v18
; %bb.29:                               ;   in Loop: Header=BB28_4 Depth=1
	s_or_b64 exec, exec, s[26:27]
.LBB28_30:                              ;   in Loop: Header=BB28_4 Depth=1
	;; [unrolled: 54-line block ×3, first 2 shown]
	s_or_b64 exec, exec, s[2:3]
	s_waitcnt lgkmcnt(0)
	s_barrier
	ds_read_b64 v[7:8], v10
	s_waitcnt lgkmcnt(0)
	v_add_f32_e32 v5, v5, v7
	v_add_f32_e32 v6, v6, v8
	ds_write_b64 v10, v[5:6]
	s_waitcnt lgkmcnt(0)
	s_barrier
	ds_read_b64 v[5:6], v9
	v_mov_b32_e32 v7, -1
	v_mov_b32_e32 v8, -1
	s_and_saveexec_b64 s[2:3], s[0:1]
; %bb.39:                               ;   in Loop: Header=BB28_4 Depth=1
	ds_read_b64 v[7:8], v9 offset:8
; %bb.40:                               ;   in Loop: Header=BB28_4 Depth=1
	s_or_b64 exec, exec, s[2:3]
	s_waitcnt lgkmcnt(0)
	v_cmp_ne_u64_e32 vcc, v[5:6], v[7:8]
	v_cmp_lt_i64_e64 s[2:3], -1, v[5:6]
	s_and_b64 s[26:27], s[2:3], vcc
	s_and_saveexec_b64 s[2:3], s[26:27]
	s_cbranch_execz .LBB28_3
; %bb.41:                               ;   in Loop: Header=BB28_4 Depth=1
	v_lshlrev_b64 v[5:6], 3, v[5:6]
	v_mov_b32_e32 v7, s7
	v_add_co_u32_e32 v5, vcc, s6, v5
	v_addc_co_u32_e32 v6, vcc, v7, v6, vcc
	global_load_dwordx2 v[7:8], v[5:6], off
	ds_read_b64 v[25:26], v10
	s_waitcnt vmcnt(0) lgkmcnt(0)
	v_add_f32_e32 v7, v25, v7
	v_add_f32_e32 v8, v26, v8
	global_store_dwordx2 v[5:6], v[7:8], off
	s_branch .LBB28_3
.LBB28_42:
	s_endpgm
	.section	.rodata,"a",@progbits
	.p2align	6, 0x0
	.amdhsa_kernel _ZN9rocsparseL29coomvn_segmented_loops_reduceILj256El21rocsparse_complex_numIfES2_EEvT0_NS_24const_host_device_scalarIT2_EEPKS3_PKS5_PT1_b
		.amdhsa_group_segment_fixed_size 4096
		.amdhsa_private_segment_fixed_size 0
		.amdhsa_kernarg_size 44
		.amdhsa_user_sgpr_count 6
		.amdhsa_user_sgpr_private_segment_buffer 1
		.amdhsa_user_sgpr_dispatch_ptr 0
		.amdhsa_user_sgpr_queue_ptr 0
		.amdhsa_user_sgpr_kernarg_segment_ptr 1
		.amdhsa_user_sgpr_dispatch_id 0
		.amdhsa_user_sgpr_flat_scratch_init 0
		.amdhsa_user_sgpr_private_segment_size 0
		.amdhsa_uses_dynamic_stack 0
		.amdhsa_system_sgpr_private_segment_wavefront_offset 0
		.amdhsa_system_sgpr_workgroup_id_x 1
		.amdhsa_system_sgpr_workgroup_id_y 0
		.amdhsa_system_sgpr_workgroup_id_z 0
		.amdhsa_system_sgpr_workgroup_info 0
		.amdhsa_system_vgpr_workitem_id 0
		.amdhsa_next_free_vgpr 29
		.amdhsa_next_free_sgpr 28
		.amdhsa_reserve_vcc 1
		.amdhsa_reserve_flat_scratch 0
		.amdhsa_float_round_mode_32 0
		.amdhsa_float_round_mode_16_64 0
		.amdhsa_float_denorm_mode_32 3
		.amdhsa_float_denorm_mode_16_64 3
		.amdhsa_dx10_clamp 1
		.amdhsa_ieee_mode 1
		.amdhsa_fp16_overflow 0
		.amdhsa_exception_fp_ieee_invalid_op 0
		.amdhsa_exception_fp_denorm_src 0
		.amdhsa_exception_fp_ieee_div_zero 0
		.amdhsa_exception_fp_ieee_overflow 0
		.amdhsa_exception_fp_ieee_underflow 0
		.amdhsa_exception_fp_ieee_inexact 0
		.amdhsa_exception_int_div_zero 0
	.end_amdhsa_kernel
	.section	.text._ZN9rocsparseL29coomvn_segmented_loops_reduceILj256El21rocsparse_complex_numIfES2_EEvT0_NS_24const_host_device_scalarIT2_EEPKS3_PKS5_PT1_b,"axG",@progbits,_ZN9rocsparseL29coomvn_segmented_loops_reduceILj256El21rocsparse_complex_numIfES2_EEvT0_NS_24const_host_device_scalarIT2_EEPKS3_PKS5_PT1_b,comdat
.Lfunc_end28:
	.size	_ZN9rocsparseL29coomvn_segmented_loops_reduceILj256El21rocsparse_complex_numIfES2_EEvT0_NS_24const_host_device_scalarIT2_EEPKS3_PKS5_PT1_b, .Lfunc_end28-_ZN9rocsparseL29coomvn_segmented_loops_reduceILj256El21rocsparse_complex_numIfES2_EEvT0_NS_24const_host_device_scalarIT2_EEPKS3_PKS5_PT1_b
                                        ; -- End function
	.set _ZN9rocsparseL29coomvn_segmented_loops_reduceILj256El21rocsparse_complex_numIfES2_EEvT0_NS_24const_host_device_scalarIT2_EEPKS3_PKS5_PT1_b.num_vgpr, 29
	.set _ZN9rocsparseL29coomvn_segmented_loops_reduceILj256El21rocsparse_complex_numIfES2_EEvT0_NS_24const_host_device_scalarIT2_EEPKS3_PKS5_PT1_b.num_agpr, 0
	.set _ZN9rocsparseL29coomvn_segmented_loops_reduceILj256El21rocsparse_complex_numIfES2_EEvT0_NS_24const_host_device_scalarIT2_EEPKS3_PKS5_PT1_b.numbered_sgpr, 28
	.set _ZN9rocsparseL29coomvn_segmented_loops_reduceILj256El21rocsparse_complex_numIfES2_EEvT0_NS_24const_host_device_scalarIT2_EEPKS3_PKS5_PT1_b.num_named_barrier, 0
	.set _ZN9rocsparseL29coomvn_segmented_loops_reduceILj256El21rocsparse_complex_numIfES2_EEvT0_NS_24const_host_device_scalarIT2_EEPKS3_PKS5_PT1_b.private_seg_size, 0
	.set _ZN9rocsparseL29coomvn_segmented_loops_reduceILj256El21rocsparse_complex_numIfES2_EEvT0_NS_24const_host_device_scalarIT2_EEPKS3_PKS5_PT1_b.uses_vcc, 1
	.set _ZN9rocsparseL29coomvn_segmented_loops_reduceILj256El21rocsparse_complex_numIfES2_EEvT0_NS_24const_host_device_scalarIT2_EEPKS3_PKS5_PT1_b.uses_flat_scratch, 0
	.set _ZN9rocsparseL29coomvn_segmented_loops_reduceILj256El21rocsparse_complex_numIfES2_EEvT0_NS_24const_host_device_scalarIT2_EEPKS3_PKS5_PT1_b.has_dyn_sized_stack, 0
	.set _ZN9rocsparseL29coomvn_segmented_loops_reduceILj256El21rocsparse_complex_numIfES2_EEvT0_NS_24const_host_device_scalarIT2_EEPKS3_PKS5_PT1_b.has_recursion, 0
	.set _ZN9rocsparseL29coomvn_segmented_loops_reduceILj256El21rocsparse_complex_numIfES2_EEvT0_NS_24const_host_device_scalarIT2_EEPKS3_PKS5_PT1_b.has_indirect_call, 0
	.section	.AMDGPU.csdata,"",@progbits
; Kernel info:
; codeLenInByte = 1576
; TotalNumSgprs: 32
; NumVgprs: 29
; ScratchSize: 0
; MemoryBound: 0
; FloatMode: 240
; IeeeMode: 1
; LDSByteSize: 4096 bytes/workgroup (compile time only)
; SGPRBlocks: 3
; VGPRBlocks: 7
; NumSGPRsForWavesPerEU: 32
; NumVGPRsForWavesPerEU: 29
; Occupancy: 8
; WaveLimiterHint : 0
; COMPUTE_PGM_RSRC2:SCRATCH_EN: 0
; COMPUTE_PGM_RSRC2:USER_SGPR: 6
; COMPUTE_PGM_RSRC2:TRAP_HANDLER: 0
; COMPUTE_PGM_RSRC2:TGID_X_EN: 1
; COMPUTE_PGM_RSRC2:TGID_Y_EN: 0
; COMPUTE_PGM_RSRC2:TGID_Z_EN: 0
; COMPUTE_PGM_RSRC2:TIDIG_COMP_CNT: 0
	.section	.text._ZN9rocsparseL13coomvt_kernelILj1024El21rocsparse_complex_numIfES2_S2_S2_EEv20rocsparse_operation_lNS_24const_host_device_scalarIT4_EEPKT0_S9_PKT1_PKT2_PT3_21rocsparse_index_base_b,"axG",@progbits,_ZN9rocsparseL13coomvt_kernelILj1024El21rocsparse_complex_numIfES2_S2_S2_EEv20rocsparse_operation_lNS_24const_host_device_scalarIT4_EEPKT0_S9_PKT1_PKT2_PT3_21rocsparse_index_base_b,comdat
	.globl	_ZN9rocsparseL13coomvt_kernelILj1024El21rocsparse_complex_numIfES2_S2_S2_EEv20rocsparse_operation_lNS_24const_host_device_scalarIT4_EEPKT0_S9_PKT1_PKT2_PT3_21rocsparse_index_base_b ; -- Begin function _ZN9rocsparseL13coomvt_kernelILj1024El21rocsparse_complex_numIfES2_S2_S2_EEv20rocsparse_operation_lNS_24const_host_device_scalarIT4_EEPKT0_S9_PKT1_PKT2_PT3_21rocsparse_index_base_b
	.p2align	8
	.type	_ZN9rocsparseL13coomvt_kernelILj1024El21rocsparse_complex_numIfES2_S2_S2_EEv20rocsparse_operation_lNS_24const_host_device_scalarIT4_EEPKT0_S9_PKT1_PKT2_PT3_21rocsparse_index_base_b,@function
_ZN9rocsparseL13coomvt_kernelILj1024El21rocsparse_complex_numIfES2_S2_S2_EEv20rocsparse_operation_lNS_24const_host_device_scalarIT4_EEPKT0_S9_PKT1_PKT2_PT3_21rocsparse_index_base_b: ; @_ZN9rocsparseL13coomvt_kernelILj1024El21rocsparse_complex_numIfES2_S2_S2_EEv20rocsparse_operation_lNS_24const_host_device_scalarIT4_EEPKT0_S9_PKT1_PKT2_PT3_21rocsparse_index_base_b
; %bb.0:
	s_load_dwordx2 s[2:3], s[4:5], 0x40
	s_load_dwordx4 s[8:11], s[4:5], 0x8
	s_add_u32 s0, s4, 16
	s_addc_u32 s1, s5, 0
	s_waitcnt lgkmcnt(0)
	s_bitcmp1_b32 s3, 0
	s_cselect_b32 s1, s1, s11
	s_cselect_b32 s0, s0, s10
	v_mov_b32_e32 v1, s0
	v_mov_b32_e32 v2, s1
	flat_load_dwordx2 v[1:2], v[1:2]
	s_waitcnt vmcnt(0) lgkmcnt(0)
	v_cmp_neq_f32_e32 vcc, 0, v1
	v_cmp_neq_f32_e64 s[0:1], 0, v2
	s_or_b64 s[0:1], vcc, s[0:1]
	s_and_saveexec_b64 s[10:11], s[0:1]
	s_cbranch_execz .LBB29_6
; %bb.1:
	s_load_dword s0, s[4:5], 0x54
	v_mov_b32_e32 v4, 0
	s_waitcnt lgkmcnt(0)
	s_and_b32 s0, s0, 0xffff
	s_mul_i32 s6, s6, s0
	v_add_u32_e32 v3, s6, v0
	v_cmp_gt_i64_e32 vcc, s[8:9], v[3:4]
	s_and_b64 exec, exec, vcc
	s_cbranch_execz .LBB29_6
; %bb.2:
	s_load_dwordx8 s[8:15], s[4:5], 0x18
	v_lshlrev_b64 v[3:4], 3, v[3:4]
	s_load_dwordx2 s[0:1], s[4:5], 0x38
	s_waitcnt lgkmcnt(0)
	v_mov_b32_e32 v0, s9
	v_add_co_u32_e32 v5, vcc, s8, v3
	v_addc_co_u32_e32 v6, vcc, v0, v4, vcc
	global_load_dwordx2 v[5:6], v[5:6], off
	v_mov_b32_e32 v0, s11
	v_add_co_u32_e32 v7, vcc, s10, v3
	v_addc_co_u32_e32 v8, vcc, v0, v4, vcc
	global_load_dwordx2 v[7:8], v[7:8], off
	;; [unrolled: 4-line block ×3, first 2 shown]
	v_mov_b32_e32 v12, s15
	v_mov_b32_e32 v9, s1
	s_waitcnt vmcnt(2)
	v_subrev_co_u32_e32 v3, vcc, s2, v5
	v_subbrev_co_u32_e32 v4, vcc, 0, v6, vcc
	v_lshlrev_b64 v[3:4], 3, v[3:4]
	s_waitcnt vmcnt(1)
	v_subrev_co_u32_e32 v5, vcc, s2, v7
	v_subbrev_co_u32_e32 v6, vcc, 0, v8, vcc
	v_lshlrev_b64 v[7:8], 3, v[5:6]
	v_add_co_u32_e32 v3, vcc, s14, v3
	v_addc_co_u32_e32 v4, vcc, v12, v4, vcc
	global_load_dwordx2 v[5:6], v[3:4], off
	v_add_co_u32_e32 v3, vcc, s0, v7
	v_addc_co_u32_e32 v4, vcc, v9, v8, vcc
	global_load_dword v8, v[3:4], off
	s_load_dword s0, s[4:5], 0x0
	s_waitcnt lgkmcnt(0)
	s_cmpk_eq_i32 s0, 0x71
	s_cselect_b64 s[0:1], -1, 0
	s_waitcnt vmcnt(2)
	v_cndmask_b32_e64 v7, v11, -v11, s[0:1]
	v_mul_f32_e32 v9, v1, v7
	v_mul_f32_e64 v0, v7, -v2
	v_fmac_f32_e32 v9, v2, v10
	v_fmac_f32_e32 v0, v1, v10
	s_mov_b64 s[0:1], 0
	s_waitcnt vmcnt(1)
	v_mul_f32_e64 v1, v6, -v9
	v_fmac_f32_e32 v1, v0, v5
.LBB29_3:                               ; =>This Inner Loop Header: Depth=1
	s_waitcnt vmcnt(0)
	v_add_f32_e32 v7, v8, v1
	global_atomic_cmpswap v2, v[3:4], v[7:8], off glc
	s_waitcnt vmcnt(0)
	v_cmp_eq_u32_e32 vcc, v2, v8
	s_or_b64 s[0:1], vcc, s[0:1]
	v_mov_b32_e32 v8, v2
	s_andn2_b64 exec, exec, s[0:1]
	s_cbranch_execnz .LBB29_3
; %bb.4:
	s_or_b64 exec, exec, s[0:1]
	global_load_dword v1, v[3:4], off offset:4
	v_mul_f32_e32 v2, v0, v6
	v_fmac_f32_e32 v2, v9, v5
	s_mov_b64 s[0:1], 0
.LBB29_5:                               ; =>This Inner Loop Header: Depth=1
	s_waitcnt vmcnt(0)
	v_add_f32_e32 v0, v1, v2
	global_atomic_cmpswap v0, v[3:4], v[0:1], off offset:4 glc
	s_waitcnt vmcnt(0)
	v_cmp_eq_u32_e32 vcc, v0, v1
	s_or_b64 s[0:1], vcc, s[0:1]
	v_mov_b32_e32 v1, v0
	s_andn2_b64 exec, exec, s[0:1]
	s_cbranch_execnz .LBB29_5
.LBB29_6:
	s_endpgm
	.section	.rodata,"a",@progbits
	.p2align	6, 0x0
	.amdhsa_kernel _ZN9rocsparseL13coomvt_kernelILj1024El21rocsparse_complex_numIfES2_S2_S2_EEv20rocsparse_operation_lNS_24const_host_device_scalarIT4_EEPKT0_S9_PKT1_PKT2_PT3_21rocsparse_index_base_b
		.amdhsa_group_segment_fixed_size 0
		.amdhsa_private_segment_fixed_size 0
		.amdhsa_kernarg_size 328
		.amdhsa_user_sgpr_count 6
		.amdhsa_user_sgpr_private_segment_buffer 1
		.amdhsa_user_sgpr_dispatch_ptr 0
		.amdhsa_user_sgpr_queue_ptr 0
		.amdhsa_user_sgpr_kernarg_segment_ptr 1
		.amdhsa_user_sgpr_dispatch_id 0
		.amdhsa_user_sgpr_flat_scratch_init 0
		.amdhsa_user_sgpr_private_segment_size 0
		.amdhsa_uses_dynamic_stack 0
		.amdhsa_system_sgpr_private_segment_wavefront_offset 0
		.amdhsa_system_sgpr_workgroup_id_x 1
		.amdhsa_system_sgpr_workgroup_id_y 0
		.amdhsa_system_sgpr_workgroup_id_z 0
		.amdhsa_system_sgpr_workgroup_info 0
		.amdhsa_system_vgpr_workitem_id 0
		.amdhsa_next_free_vgpr 13
		.amdhsa_next_free_sgpr 16
		.amdhsa_reserve_vcc 1
		.amdhsa_reserve_flat_scratch 0
		.amdhsa_float_round_mode_32 0
		.amdhsa_float_round_mode_16_64 0
		.amdhsa_float_denorm_mode_32 3
		.amdhsa_float_denorm_mode_16_64 3
		.amdhsa_dx10_clamp 1
		.amdhsa_ieee_mode 1
		.amdhsa_fp16_overflow 0
		.amdhsa_exception_fp_ieee_invalid_op 0
		.amdhsa_exception_fp_denorm_src 0
		.amdhsa_exception_fp_ieee_div_zero 0
		.amdhsa_exception_fp_ieee_overflow 0
		.amdhsa_exception_fp_ieee_underflow 0
		.amdhsa_exception_fp_ieee_inexact 0
		.amdhsa_exception_int_div_zero 0
	.end_amdhsa_kernel
	.section	.text._ZN9rocsparseL13coomvt_kernelILj1024El21rocsparse_complex_numIfES2_S2_S2_EEv20rocsparse_operation_lNS_24const_host_device_scalarIT4_EEPKT0_S9_PKT1_PKT2_PT3_21rocsparse_index_base_b,"axG",@progbits,_ZN9rocsparseL13coomvt_kernelILj1024El21rocsparse_complex_numIfES2_S2_S2_EEv20rocsparse_operation_lNS_24const_host_device_scalarIT4_EEPKT0_S9_PKT1_PKT2_PT3_21rocsparse_index_base_b,comdat
.Lfunc_end29:
	.size	_ZN9rocsparseL13coomvt_kernelILj1024El21rocsparse_complex_numIfES2_S2_S2_EEv20rocsparse_operation_lNS_24const_host_device_scalarIT4_EEPKT0_S9_PKT1_PKT2_PT3_21rocsparse_index_base_b, .Lfunc_end29-_ZN9rocsparseL13coomvt_kernelILj1024El21rocsparse_complex_numIfES2_S2_S2_EEv20rocsparse_operation_lNS_24const_host_device_scalarIT4_EEPKT0_S9_PKT1_PKT2_PT3_21rocsparse_index_base_b
                                        ; -- End function
	.set _ZN9rocsparseL13coomvt_kernelILj1024El21rocsparse_complex_numIfES2_S2_S2_EEv20rocsparse_operation_lNS_24const_host_device_scalarIT4_EEPKT0_S9_PKT1_PKT2_PT3_21rocsparse_index_base_b.num_vgpr, 13
	.set _ZN9rocsparseL13coomvt_kernelILj1024El21rocsparse_complex_numIfES2_S2_S2_EEv20rocsparse_operation_lNS_24const_host_device_scalarIT4_EEPKT0_S9_PKT1_PKT2_PT3_21rocsparse_index_base_b.num_agpr, 0
	.set _ZN9rocsparseL13coomvt_kernelILj1024El21rocsparse_complex_numIfES2_S2_S2_EEv20rocsparse_operation_lNS_24const_host_device_scalarIT4_EEPKT0_S9_PKT1_PKT2_PT3_21rocsparse_index_base_b.numbered_sgpr, 16
	.set _ZN9rocsparseL13coomvt_kernelILj1024El21rocsparse_complex_numIfES2_S2_S2_EEv20rocsparse_operation_lNS_24const_host_device_scalarIT4_EEPKT0_S9_PKT1_PKT2_PT3_21rocsparse_index_base_b.num_named_barrier, 0
	.set _ZN9rocsparseL13coomvt_kernelILj1024El21rocsparse_complex_numIfES2_S2_S2_EEv20rocsparse_operation_lNS_24const_host_device_scalarIT4_EEPKT0_S9_PKT1_PKT2_PT3_21rocsparse_index_base_b.private_seg_size, 0
	.set _ZN9rocsparseL13coomvt_kernelILj1024El21rocsparse_complex_numIfES2_S2_S2_EEv20rocsparse_operation_lNS_24const_host_device_scalarIT4_EEPKT0_S9_PKT1_PKT2_PT3_21rocsparse_index_base_b.uses_vcc, 1
	.set _ZN9rocsparseL13coomvt_kernelILj1024El21rocsparse_complex_numIfES2_S2_S2_EEv20rocsparse_operation_lNS_24const_host_device_scalarIT4_EEPKT0_S9_PKT1_PKT2_PT3_21rocsparse_index_base_b.uses_flat_scratch, 0
	.set _ZN9rocsparseL13coomvt_kernelILj1024El21rocsparse_complex_numIfES2_S2_S2_EEv20rocsparse_operation_lNS_24const_host_device_scalarIT4_EEPKT0_S9_PKT1_PKT2_PT3_21rocsparse_index_base_b.has_dyn_sized_stack, 0
	.set _ZN9rocsparseL13coomvt_kernelILj1024El21rocsparse_complex_numIfES2_S2_S2_EEv20rocsparse_operation_lNS_24const_host_device_scalarIT4_EEPKT0_S9_PKT1_PKT2_PT3_21rocsparse_index_base_b.has_recursion, 0
	.set _ZN9rocsparseL13coomvt_kernelILj1024El21rocsparse_complex_numIfES2_S2_S2_EEv20rocsparse_operation_lNS_24const_host_device_scalarIT4_EEPKT0_S9_PKT1_PKT2_PT3_21rocsparse_index_base_b.has_indirect_call, 0
	.section	.AMDGPU.csdata,"",@progbits
; Kernel info:
; codeLenInByte = 476
; TotalNumSgprs: 20
; NumVgprs: 13
; ScratchSize: 0
; MemoryBound: 0
; FloatMode: 240
; IeeeMode: 1
; LDSByteSize: 0 bytes/workgroup (compile time only)
; SGPRBlocks: 2
; VGPRBlocks: 3
; NumSGPRsForWavesPerEU: 20
; NumVGPRsForWavesPerEU: 13
; Occupancy: 10
; WaveLimiterHint : 1
; COMPUTE_PGM_RSRC2:SCRATCH_EN: 0
; COMPUTE_PGM_RSRC2:USER_SGPR: 6
; COMPUTE_PGM_RSRC2:TRAP_HANDLER: 0
; COMPUTE_PGM_RSRC2:TGID_X_EN: 1
; COMPUTE_PGM_RSRC2:TGID_Y_EN: 0
; COMPUTE_PGM_RSRC2:TGID_Z_EN: 0
; COMPUTE_PGM_RSRC2:TIDIG_COMP_CNT: 0
	.section	.text._ZN9rocsparseL19coomvn_atomic_loopsILj256ELj1El21rocsparse_complex_numIfES2_S2_S2_EEvlNS_24const_host_device_scalarIT5_EEPKT1_S8_PKT2_PKT3_PT4_21rocsparse_index_base_b,"axG",@progbits,_ZN9rocsparseL19coomvn_atomic_loopsILj256ELj1El21rocsparse_complex_numIfES2_S2_S2_EEvlNS_24const_host_device_scalarIT5_EEPKT1_S8_PKT2_PKT3_PT4_21rocsparse_index_base_b,comdat
	.globl	_ZN9rocsparseL19coomvn_atomic_loopsILj256ELj1El21rocsparse_complex_numIfES2_S2_S2_EEvlNS_24const_host_device_scalarIT5_EEPKT1_S8_PKT2_PKT3_PT4_21rocsparse_index_base_b ; -- Begin function _ZN9rocsparseL19coomvn_atomic_loopsILj256ELj1El21rocsparse_complex_numIfES2_S2_S2_EEvlNS_24const_host_device_scalarIT5_EEPKT1_S8_PKT2_PKT3_PT4_21rocsparse_index_base_b
	.p2align	8
	.type	_ZN9rocsparseL19coomvn_atomic_loopsILj256ELj1El21rocsparse_complex_numIfES2_S2_S2_EEvlNS_24const_host_device_scalarIT5_EEPKT1_S8_PKT2_PKT3_PT4_21rocsparse_index_base_b,@function
_ZN9rocsparseL19coomvn_atomic_loopsILj256ELj1El21rocsparse_complex_numIfES2_S2_S2_EEvlNS_24const_host_device_scalarIT5_EEPKT1_S8_PKT2_PKT3_PT4_21rocsparse_index_base_b: ; @_ZN9rocsparseL19coomvn_atomic_loopsILj256ELj1El21rocsparse_complex_numIfES2_S2_S2_EEvlNS_24const_host_device_scalarIT5_EEPKT1_S8_PKT2_PKT3_PT4_21rocsparse_index_base_b
; %bb.0:
	s_load_dwordx2 s[2:3], s[4:5], 0x38
	s_load_dwordx4 s[8:11], s[4:5], 0x0
	s_or_b32 s0, s4, 8
	s_waitcnt lgkmcnt(0)
	s_bitcmp1_b32 s3, 0
	s_cselect_b32 s1, s5, s11
	s_cselect_b32 s0, s0, s10
	v_mov_b32_e32 v1, s0
	v_mov_b32_e32 v2, s1
	flat_load_dwordx2 v[1:2], v[1:2]
	s_waitcnt vmcnt(0) lgkmcnt(0)
	v_cmp_neq_f32_e32 vcc, 0, v1
	v_cmp_neq_f32_e64 s[0:1], 0, v2
	s_or_b64 s[0:1], vcc, s[0:1]
	s_and_saveexec_b64 s[10:11], s[0:1]
	s_cbranch_execz .LBB30_46
; %bb.1:
	v_lshl_or_b32 v7, s6, 8, v0
	v_mov_b32_e32 v8, 0
	v_cmp_gt_i64_e32 vcc, s[8:9], v[7:8]
	v_mov_b32_e32 v5, -1
	v_mov_b32_e32 v6, -1
	v_mov_b32_e32 v3, v8
	v_mov_b32_e32 v4, v8
	s_and_saveexec_b64 s[0:1], vcc
	s_cbranch_execz .LBB30_3
; %bb.2:
	s_load_dwordx8 s[8:15], s[4:5], 0x10
	v_lshlrev_b64 v[3:4], 3, v[7:8]
	s_waitcnt lgkmcnt(0)
	v_mov_b32_e32 v6, s11
	v_add_co_u32_e32 v5, vcc, s10, v3
	v_addc_co_u32_e32 v6, vcc, v6, v4, vcc
	global_load_dwordx2 v[5:6], v[5:6], off glc slc
	v_mov_b32_e32 v8, s9
	v_add_co_u32_e32 v7, vcc, s8, v3
	v_addc_co_u32_e32 v8, vcc, v8, v4, vcc
	v_mov_b32_e32 v9, s13
	v_add_co_u32_e32 v3, vcc, s12, v3
	v_addc_co_u32_e32 v4, vcc, v9, v4, vcc
	global_load_dwordx2 v[9:10], v[7:8], off glc slc
	global_load_dwordx2 v[11:12], v[3:4], off glc slc
	v_mov_b32_e32 v13, s15
	s_waitcnt vmcnt(2)
	v_subrev_co_u32_e32 v3, vcc, s2, v5
	v_subbrev_co_u32_e32 v4, vcc, 0, v6, vcc
	v_lshlrev_b64 v[3:4], 3, v[3:4]
	v_add_co_u32_e32 v3, vcc, s14, v3
	v_addc_co_u32_e32 v4, vcc, v13, v4, vcc
	global_load_dwordx2 v[7:8], v[3:4], off
	s_waitcnt vmcnt(2)
	v_subrev_co_u32_e32 v5, vcc, s2, v9
	v_subbrev_co_u32_e32 v6, vcc, 0, v10, vcc
	s_waitcnt vmcnt(0)
	v_mul_f32_e64 v3, v8, -v12
	v_mul_f32_e32 v4, v11, v8
	v_fmac_f32_e32 v3, v11, v7
	v_fmac_f32_e32 v4, v12, v7
.LBB30_3:
	s_or_b64 exec, exec, s[0:1]
	v_lshlrev_b32_e32 v7, 3, v0
	v_or_b32_e32 v8, 0x800, v7
	v_cmp_ne_u32_e32 vcc, 0, v0
	ds_write2st64_b64 v7, v[5:6], v[3:4] offset1:4
	s_waitcnt lgkmcnt(0)
	s_barrier
	s_and_saveexec_b64 s[0:1], vcc
	s_cbranch_execz .LBB30_7
; %bb.4:
	v_add_u32_e32 v9, -8, v7
	ds_read_b64 v[9:10], v9
	s_waitcnt lgkmcnt(0)
	v_cmp_eq_u64_e32 vcc, v[5:6], v[9:10]
	s_and_saveexec_b64 s[2:3], vcc
	s_cbranch_execz .LBB30_6
; %bb.5:
	v_add_u32_e32 v9, -8, v8
	ds_read_b64 v[9:10], v9
	s_waitcnt lgkmcnt(0)
	v_add_f32_e32 v3, v3, v9
	v_add_f32_e32 v4, v4, v10
.LBB30_6:
	s_or_b64 exec, exec, s[2:3]
.LBB30_7:
	s_or_b64 exec, exec, s[0:1]
	v_cmp_lt_u32_e32 vcc, 1, v0
	s_barrier
	ds_write_b64 v8, v[3:4]
	s_waitcnt lgkmcnt(0)
	s_barrier
	s_and_saveexec_b64 s[0:1], vcc
	s_cbranch_execz .LBB30_11
; %bb.8:
	v_add_u32_e32 v9, -16, v7
	ds_read_b64 v[9:10], v9
	s_waitcnt lgkmcnt(0)
	v_cmp_eq_u64_e32 vcc, v[5:6], v[9:10]
	s_and_saveexec_b64 s[2:3], vcc
	s_cbranch_execz .LBB30_10
; %bb.9:
	v_add_u32_e32 v9, -16, v8
	ds_read_b64 v[9:10], v9
	s_waitcnt lgkmcnt(0)
	v_add_f32_e32 v3, v3, v9
	v_add_f32_e32 v4, v4, v10
.LBB30_10:
	s_or_b64 exec, exec, s[2:3]
.LBB30_11:
	s_or_b64 exec, exec, s[0:1]
	v_cmp_lt_u32_e32 vcc, 3, v0
	s_barrier
	ds_write_b64 v8, v[3:4]
	s_waitcnt lgkmcnt(0)
	s_barrier
	s_and_saveexec_b64 s[0:1], vcc
	s_cbranch_execz .LBB30_15
; %bb.12:
	v_subrev_u32_e32 v9, 32, v7
	ds_read_b64 v[9:10], v9
	s_waitcnt lgkmcnt(0)
	v_cmp_eq_u64_e32 vcc, v[5:6], v[9:10]
	s_and_saveexec_b64 s[2:3], vcc
	s_cbranch_execz .LBB30_14
; %bb.13:
	v_subrev_u32_e32 v9, 32, v8
	ds_read_b64 v[9:10], v9
	s_waitcnt lgkmcnt(0)
	v_add_f32_e32 v3, v3, v9
	v_add_f32_e32 v4, v4, v10
.LBB30_14:
	s_or_b64 exec, exec, s[2:3]
.LBB30_15:
	s_or_b64 exec, exec, s[0:1]
	v_cmp_lt_u32_e32 vcc, 7, v0
	s_barrier
	ds_write_b64 v8, v[3:4]
	s_waitcnt lgkmcnt(0)
	s_barrier
	s_and_saveexec_b64 s[0:1], vcc
	s_cbranch_execz .LBB30_19
; %bb.16:
	v_subrev_u32_e32 v9, 64, v7
	ds_read_b64 v[9:10], v9
	s_waitcnt lgkmcnt(0)
	v_cmp_eq_u64_e32 vcc, v[5:6], v[9:10]
	s_and_saveexec_b64 s[2:3], vcc
	s_cbranch_execz .LBB30_18
; %bb.17:
	v_subrev_u32_e32 v9, 64, v8
	ds_read_b64 v[9:10], v9
	s_waitcnt lgkmcnt(0)
	v_add_f32_e32 v3, v3, v9
	v_add_f32_e32 v4, v4, v10
.LBB30_18:
	s_or_b64 exec, exec, s[2:3]
.LBB30_19:
	s_or_b64 exec, exec, s[0:1]
	v_cmp_lt_u32_e32 vcc, 15, v0
	s_barrier
	ds_write_b64 v8, v[3:4]
	s_waitcnt lgkmcnt(0)
	s_barrier
	s_and_saveexec_b64 s[0:1], vcc
	s_cbranch_execz .LBB30_23
; %bb.20:
	v_add_u32_e32 v9, 0xffffff80, v7
	ds_read_b64 v[9:10], v9
	s_waitcnt lgkmcnt(0)
	v_cmp_eq_u64_e32 vcc, v[5:6], v[9:10]
	s_and_saveexec_b64 s[2:3], vcc
	s_cbranch_execz .LBB30_22
; %bb.21:
	v_add_u32_e32 v9, 0xffffff80, v8
	ds_read_b64 v[9:10], v9
	s_waitcnt lgkmcnt(0)
	v_add_f32_e32 v3, v3, v9
	v_add_f32_e32 v4, v4, v10
.LBB30_22:
	s_or_b64 exec, exec, s[2:3]
.LBB30_23:
	s_or_b64 exec, exec, s[0:1]
	v_cmp_lt_u32_e32 vcc, 31, v0
	s_barrier
	ds_write_b64 v8, v[3:4]
	s_waitcnt lgkmcnt(0)
	s_barrier
	s_and_saveexec_b64 s[0:1], vcc
	s_cbranch_execz .LBB30_27
; %bb.24:
	v_add_u32_e32 v9, 0xffffff00, v7
	ds_read_b64 v[9:10], v9
	s_waitcnt lgkmcnt(0)
	v_cmp_eq_u64_e32 vcc, v[5:6], v[9:10]
	s_and_saveexec_b64 s[2:3], vcc
	s_cbranch_execz .LBB30_26
; %bb.25:
	v_add_u32_e32 v9, 0xffffff00, v8
	ds_read_b64 v[9:10], v9
	s_waitcnt lgkmcnt(0)
	v_add_f32_e32 v3, v3, v9
	v_add_f32_e32 v4, v4, v10
.LBB30_26:
	s_or_b64 exec, exec, s[2:3]
.LBB30_27:
	;; [unrolled: 24-line block ×3, first 2 shown]
	s_or_b64 exec, exec, s[0:1]
	s_load_dwordx2 s[2:3], s[4:5], 0x30
	s_movk_i32 s0, 0x7f
	v_cmp_lt_u32_e32 vcc, s0, v0
	s_waitcnt lgkmcnt(0)
	s_barrier
	ds_write_b64 v8, v[3:4]
	s_waitcnt lgkmcnt(0)
	s_barrier
	s_and_saveexec_b64 s[0:1], vcc
	s_cbranch_execz .LBB30_35
; %bb.32:
	v_add_u32_e32 v9, 0xfffffc00, v7
	ds_read_b64 v[9:10], v9
	s_waitcnt lgkmcnt(0)
	v_cmp_eq_u64_e32 vcc, v[5:6], v[9:10]
	s_and_saveexec_b64 s[4:5], vcc
	s_cbranch_execz .LBB30_34
; %bb.33:
	v_add_u32_e32 v9, 0xfffffc00, v8
	ds_read_b64 v[9:10], v9
	s_waitcnt lgkmcnt(0)
	v_add_f32_e32 v3, v3, v9
	v_add_f32_e32 v4, v4, v10
.LBB30_34:
	s_or_b64 exec, exec, s[4:5]
.LBB30_35:
	s_or_b64 exec, exec, s[0:1]
	s_movk_i32 s6, 0xff
	v_cmp_gt_u32_e32 vcc, s6, v0
	s_barrier
	ds_write_b64 v8, v[3:4]
	s_waitcnt lgkmcnt(0)
	s_barrier
	s_and_saveexec_b64 s[4:5], vcc
	s_cbranch_execz .LBB30_41
; %bb.36:
	ds_read_b64 v[7:8], v7 offset:8
	v_cmp_lt_i64_e64 s[0:1], -1, v[5:6]
	s_waitcnt lgkmcnt(0)
	v_cmp_ne_u64_e32 vcc, v[5:6], v[7:8]
	s_and_b64 s[0:1], s[0:1], vcc
	s_and_b64 exec, exec, s[0:1]
	s_cbranch_execz .LBB30_41
; %bb.37:
	v_lshlrev_b64 v[7:8], 3, v[5:6]
	v_mov_b32_e32 v9, s3
	v_add_co_u32_e32 v7, vcc, s2, v7
	v_addc_co_u32_e32 v8, vcc, v9, v8, vcc
	global_load_dword v10, v[7:8], off
	v_mul_f32_e64 v11, v4, -v2
	v_fmac_f32_e32 v11, v1, v3
	s_mov_b64 s[0:1], 0
.LBB30_38:                              ; =>This Inner Loop Header: Depth=1
	s_waitcnt vmcnt(0)
	v_add_f32_e32 v9, v10, v11
	global_atomic_cmpswap v9, v[7:8], v[9:10], off glc
	s_waitcnt vmcnt(0)
	v_cmp_eq_u32_e32 vcc, v9, v10
	s_or_b64 s[0:1], vcc, s[0:1]
	v_mov_b32_e32 v10, v9
	s_andn2_b64 exec, exec, s[0:1]
	s_cbranch_execnz .LBB30_38
; %bb.39:
	s_or_b64 exec, exec, s[0:1]
	global_load_dword v10, v[7:8], off offset:4
	v_mul_f32_e32 v11, v1, v4
	v_fmac_f32_e32 v11, v2, v3
	s_mov_b64 s[0:1], 0
.LBB30_40:                              ; =>This Inner Loop Header: Depth=1
	s_waitcnt vmcnt(0)
	v_add_f32_e32 v9, v10, v11
	global_atomic_cmpswap v9, v[7:8], v[9:10], off offset:4 glc
	s_waitcnt vmcnt(0)
	v_cmp_eq_u32_e32 vcc, v9, v10
	s_or_b64 s[0:1], vcc, s[0:1]
	v_mov_b32_e32 v10, v9
	s_andn2_b64 exec, exec, s[0:1]
	s_cbranch_execnz .LBB30_40
.LBB30_41:
	s_or_b64 exec, exec, s[4:5]
	v_cmp_lt_i64_e32 vcc, -1, v[5:6]
	v_cmp_eq_u32_e64 s[0:1], s6, v0
	s_and_b64 s[0:1], s[0:1], vcc
	s_and_b64 exec, exec, s[0:1]
	s_cbranch_execz .LBB30_46
; %bb.42:
	v_lshlrev_b64 v[5:6], 3, v[5:6]
	v_mov_b32_e32 v0, s3
	v_add_co_u32_e32 v5, vcc, s2, v5
	v_addc_co_u32_e32 v6, vcc, v0, v6, vcc
	global_load_dword v8, v[5:6], off
	v_mul_f32_e64 v0, v4, -v2
	v_fmac_f32_e32 v0, v1, v3
	s_mov_b64 s[0:1], 0
.LBB30_43:                              ; =>This Inner Loop Header: Depth=1
	s_waitcnt vmcnt(0)
	v_add_f32_e32 v7, v8, v0
	global_atomic_cmpswap v7, v[5:6], v[7:8], off glc
	s_waitcnt vmcnt(0)
	v_cmp_eq_u32_e32 vcc, v7, v8
	s_or_b64 s[0:1], vcc, s[0:1]
	v_mov_b32_e32 v8, v7
	s_andn2_b64 exec, exec, s[0:1]
	s_cbranch_execnz .LBB30_43
; %bb.44:
	s_or_b64 exec, exec, s[0:1]
	global_load_dword v8, v[5:6], off offset:4
	v_mul_f32_e32 v0, v1, v4
	v_fmac_f32_e32 v0, v2, v3
	s_mov_b64 s[0:1], 0
.LBB30_45:                              ; =>This Inner Loop Header: Depth=1
	s_waitcnt vmcnt(0)
	v_add_f32_e32 v7, v8, v0
	global_atomic_cmpswap v1, v[5:6], v[7:8], off offset:4 glc
	s_waitcnt vmcnt(0)
	v_cmp_eq_u32_e32 vcc, v1, v8
	s_or_b64 s[0:1], vcc, s[0:1]
	v_mov_b32_e32 v8, v1
	s_andn2_b64 exec, exec, s[0:1]
	s_cbranch_execnz .LBB30_45
.LBB30_46:
	s_endpgm
	.section	.rodata,"a",@progbits
	.p2align	6, 0x0
	.amdhsa_kernel _ZN9rocsparseL19coomvn_atomic_loopsILj256ELj1El21rocsparse_complex_numIfES2_S2_S2_EEvlNS_24const_host_device_scalarIT5_EEPKT1_S8_PKT2_PKT3_PT4_21rocsparse_index_base_b
		.amdhsa_group_segment_fixed_size 4096
		.amdhsa_private_segment_fixed_size 0
		.amdhsa_kernarg_size 64
		.amdhsa_user_sgpr_count 6
		.amdhsa_user_sgpr_private_segment_buffer 1
		.amdhsa_user_sgpr_dispatch_ptr 0
		.amdhsa_user_sgpr_queue_ptr 0
		.amdhsa_user_sgpr_kernarg_segment_ptr 1
		.amdhsa_user_sgpr_dispatch_id 0
		.amdhsa_user_sgpr_flat_scratch_init 0
		.amdhsa_user_sgpr_private_segment_size 0
		.amdhsa_uses_dynamic_stack 0
		.amdhsa_system_sgpr_private_segment_wavefront_offset 0
		.amdhsa_system_sgpr_workgroup_id_x 1
		.amdhsa_system_sgpr_workgroup_id_y 0
		.amdhsa_system_sgpr_workgroup_id_z 0
		.amdhsa_system_sgpr_workgroup_info 0
		.amdhsa_system_vgpr_workitem_id 0
		.amdhsa_next_free_vgpr 14
		.amdhsa_next_free_sgpr 16
		.amdhsa_reserve_vcc 1
		.amdhsa_reserve_flat_scratch 0
		.amdhsa_float_round_mode_32 0
		.amdhsa_float_round_mode_16_64 0
		.amdhsa_float_denorm_mode_32 3
		.amdhsa_float_denorm_mode_16_64 3
		.amdhsa_dx10_clamp 1
		.amdhsa_ieee_mode 1
		.amdhsa_fp16_overflow 0
		.amdhsa_exception_fp_ieee_invalid_op 0
		.amdhsa_exception_fp_denorm_src 0
		.amdhsa_exception_fp_ieee_div_zero 0
		.amdhsa_exception_fp_ieee_overflow 0
		.amdhsa_exception_fp_ieee_underflow 0
		.amdhsa_exception_fp_ieee_inexact 0
		.amdhsa_exception_int_div_zero 0
	.end_amdhsa_kernel
	.section	.text._ZN9rocsparseL19coomvn_atomic_loopsILj256ELj1El21rocsparse_complex_numIfES2_S2_S2_EEvlNS_24const_host_device_scalarIT5_EEPKT1_S8_PKT2_PKT3_PT4_21rocsparse_index_base_b,"axG",@progbits,_ZN9rocsparseL19coomvn_atomic_loopsILj256ELj1El21rocsparse_complex_numIfES2_S2_S2_EEvlNS_24const_host_device_scalarIT5_EEPKT1_S8_PKT2_PKT3_PT4_21rocsparse_index_base_b,comdat
.Lfunc_end30:
	.size	_ZN9rocsparseL19coomvn_atomic_loopsILj256ELj1El21rocsparse_complex_numIfES2_S2_S2_EEvlNS_24const_host_device_scalarIT5_EEPKT1_S8_PKT2_PKT3_PT4_21rocsparse_index_base_b, .Lfunc_end30-_ZN9rocsparseL19coomvn_atomic_loopsILj256ELj1El21rocsparse_complex_numIfES2_S2_S2_EEvlNS_24const_host_device_scalarIT5_EEPKT1_S8_PKT2_PKT3_PT4_21rocsparse_index_base_b
                                        ; -- End function
	.set _ZN9rocsparseL19coomvn_atomic_loopsILj256ELj1El21rocsparse_complex_numIfES2_S2_S2_EEvlNS_24const_host_device_scalarIT5_EEPKT1_S8_PKT2_PKT3_PT4_21rocsparse_index_base_b.num_vgpr, 14
	.set _ZN9rocsparseL19coomvn_atomic_loopsILj256ELj1El21rocsparse_complex_numIfES2_S2_S2_EEvlNS_24const_host_device_scalarIT5_EEPKT1_S8_PKT2_PKT3_PT4_21rocsparse_index_base_b.num_agpr, 0
	.set _ZN9rocsparseL19coomvn_atomic_loopsILj256ELj1El21rocsparse_complex_numIfES2_S2_S2_EEvlNS_24const_host_device_scalarIT5_EEPKT1_S8_PKT2_PKT3_PT4_21rocsparse_index_base_b.numbered_sgpr, 16
	.set _ZN9rocsparseL19coomvn_atomic_loopsILj256ELj1El21rocsparse_complex_numIfES2_S2_S2_EEvlNS_24const_host_device_scalarIT5_EEPKT1_S8_PKT2_PKT3_PT4_21rocsparse_index_base_b.num_named_barrier, 0
	.set _ZN9rocsparseL19coomvn_atomic_loopsILj256ELj1El21rocsparse_complex_numIfES2_S2_S2_EEvlNS_24const_host_device_scalarIT5_EEPKT1_S8_PKT2_PKT3_PT4_21rocsparse_index_base_b.private_seg_size, 0
	.set _ZN9rocsparseL19coomvn_atomic_loopsILj256ELj1El21rocsparse_complex_numIfES2_S2_S2_EEvlNS_24const_host_device_scalarIT5_EEPKT1_S8_PKT2_PKT3_PT4_21rocsparse_index_base_b.uses_vcc, 1
	.set _ZN9rocsparseL19coomvn_atomic_loopsILj256ELj1El21rocsparse_complex_numIfES2_S2_S2_EEvlNS_24const_host_device_scalarIT5_EEPKT1_S8_PKT2_PKT3_PT4_21rocsparse_index_base_b.uses_flat_scratch, 0
	.set _ZN9rocsparseL19coomvn_atomic_loopsILj256ELj1El21rocsparse_complex_numIfES2_S2_S2_EEvlNS_24const_host_device_scalarIT5_EEPKT1_S8_PKT2_PKT3_PT4_21rocsparse_index_base_b.has_dyn_sized_stack, 0
	.set _ZN9rocsparseL19coomvn_atomic_loopsILj256ELj1El21rocsparse_complex_numIfES2_S2_S2_EEvlNS_24const_host_device_scalarIT5_EEPKT1_S8_PKT2_PKT3_PT4_21rocsparse_index_base_b.has_recursion, 0
	.set _ZN9rocsparseL19coomvn_atomic_loopsILj256ELj1El21rocsparse_complex_numIfES2_S2_S2_EEvlNS_24const_host_device_scalarIT5_EEPKT1_S8_PKT2_PKT3_PT4_21rocsparse_index_base_b.has_indirect_call, 0
	.section	.AMDGPU.csdata,"",@progbits
; Kernel info:
; codeLenInByte = 1472
; TotalNumSgprs: 20
; NumVgprs: 14
; ScratchSize: 0
; MemoryBound: 0
; FloatMode: 240
; IeeeMode: 1
; LDSByteSize: 4096 bytes/workgroup (compile time only)
; SGPRBlocks: 2
; VGPRBlocks: 3
; NumSGPRsForWavesPerEU: 20
; NumVGPRsForWavesPerEU: 14
; Occupancy: 10
; WaveLimiterHint : 1
; COMPUTE_PGM_RSRC2:SCRATCH_EN: 0
; COMPUTE_PGM_RSRC2:USER_SGPR: 6
; COMPUTE_PGM_RSRC2:TRAP_HANDLER: 0
; COMPUTE_PGM_RSRC2:TGID_X_EN: 1
; COMPUTE_PGM_RSRC2:TGID_Y_EN: 0
; COMPUTE_PGM_RSRC2:TGID_Z_EN: 0
; COMPUTE_PGM_RSRC2:TIDIG_COMP_CNT: 0
	.section	.text._ZN9rocsparseL19coomvn_atomic_loopsILj256ELj2El21rocsparse_complex_numIfES2_S2_S2_EEvlNS_24const_host_device_scalarIT5_EEPKT1_S8_PKT2_PKT3_PT4_21rocsparse_index_base_b,"axG",@progbits,_ZN9rocsparseL19coomvn_atomic_loopsILj256ELj2El21rocsparse_complex_numIfES2_S2_S2_EEvlNS_24const_host_device_scalarIT5_EEPKT1_S8_PKT2_PKT3_PT4_21rocsparse_index_base_b,comdat
	.globl	_ZN9rocsparseL19coomvn_atomic_loopsILj256ELj2El21rocsparse_complex_numIfES2_S2_S2_EEvlNS_24const_host_device_scalarIT5_EEPKT1_S8_PKT2_PKT3_PT4_21rocsparse_index_base_b ; -- Begin function _ZN9rocsparseL19coomvn_atomic_loopsILj256ELj2El21rocsparse_complex_numIfES2_S2_S2_EEvlNS_24const_host_device_scalarIT5_EEPKT1_S8_PKT2_PKT3_PT4_21rocsparse_index_base_b
	.p2align	8
	.type	_ZN9rocsparseL19coomvn_atomic_loopsILj256ELj2El21rocsparse_complex_numIfES2_S2_S2_EEvlNS_24const_host_device_scalarIT5_EEPKT1_S8_PKT2_PKT3_PT4_21rocsparse_index_base_b,@function
_ZN9rocsparseL19coomvn_atomic_loopsILj256ELj2El21rocsparse_complex_numIfES2_S2_S2_EEvlNS_24const_host_device_scalarIT5_EEPKT1_S8_PKT2_PKT3_PT4_21rocsparse_index_base_b: ; @_ZN9rocsparseL19coomvn_atomic_loopsILj256ELj2El21rocsparse_complex_numIfES2_S2_S2_EEvlNS_24const_host_device_scalarIT5_EEPKT1_S8_PKT2_PKT3_PT4_21rocsparse_index_base_b
; %bb.0:
	s_load_dwordx2 s[34:35], s[4:5], 0x38
	s_load_dwordx4 s[36:39], s[4:5], 0x0
	s_or_b32 s0, s4, 8
	s_waitcnt lgkmcnt(0)
	s_bitcmp1_b32 s35, 0
	s_cselect_b32 s1, s5, s39
	s_cselect_b32 s0, s0, s38
	v_mov_b32_e32 v1, s0
	v_mov_b32_e32 v2, s1
	flat_load_dwordx2 v[1:2], v[1:2]
	s_waitcnt vmcnt(0) lgkmcnt(0)
	v_cmp_neq_f32_e32 vcc, 0, v1
	v_cmp_neq_f32_e64 s[0:1], 0, v2
	s_or_b64 s[0:1], vcc, s[0:1]
	s_and_saveexec_b64 s[2:3], s[0:1]
	s_cbranch_execz .LBB31_105
; %bb.1:
	s_load_dwordx8 s[24:31], s[4:5], 0x10
	v_lshl_or_b32 v3, s6, 9, v0
	v_mov_b32_e32 v4, 0
	v_cmp_gt_i64_e32 vcc, s[36:37], v[3:4]
	v_mov_b32_e32 v9, -1
	v_lshlrev_b64 v[7:8], 3, v[3:4]
	v_mov_b32_e32 v10, -1
	v_mov_b32_e32 v5, v4
	v_mov_b32_e32 v6, v4
	s_and_saveexec_b64 s[0:1], vcc
	s_cbranch_execz .LBB31_3
; %bb.2:
	s_waitcnt lgkmcnt(0)
	v_mov_b32_e32 v5, s27
	v_add_co_u32_e32 v4, vcc, s26, v7
	v_addc_co_u32_e32 v5, vcc, v5, v8, vcc
	global_load_dwordx2 v[4:5], v[4:5], off glc slc
	v_mov_b32_e32 v6, s25
	v_add_co_u32_e32 v9, vcc, s24, v7
	v_addc_co_u32_e32 v10, vcc, v6, v8, vcc
	v_mov_b32_e32 v12, s29
	v_add_co_u32_e32 v11, vcc, s28, v7
	v_addc_co_u32_e32 v12, vcc, v12, v8, vcc
	v_mov_b32_e32 v17, s31
	global_load_dwordx2 v[13:14], v[9:10], off glc slc
	global_load_dwordx2 v[15:16], v[11:12], off glc slc
	s_waitcnt vmcnt(2)
	v_subrev_co_u32_e32 v4, vcc, s34, v4
	v_subbrev_co_u32_e32 v5, vcc, 0, v5, vcc
	v_lshlrev_b64 v[4:5], 3, v[4:5]
	v_add_co_u32_e32 v4, vcc, s30, v4
	v_addc_co_u32_e32 v5, vcc, v17, v5, vcc
	global_load_dwordx2 v[11:12], v[4:5], off
	s_waitcnt vmcnt(2)
	v_subrev_co_u32_e32 v9, vcc, s34, v13
	v_subbrev_co_u32_e32 v10, vcc, 0, v14, vcc
	s_waitcnt vmcnt(0)
	v_mul_f32_e64 v5, v12, -v16
	v_mul_f32_e32 v6, v15, v12
	v_fmac_f32_e32 v5, v15, v11
	v_fmac_f32_e32 v6, v16, v11
.LBB31_3:
	s_or_b64 exec, exec, s[0:1]
	v_lshlrev_b32_e32 v13, 3, v0
	v_or_b32_e32 v14, 0x800, v13
	v_cmp_eq_u32_e64 s[18:19], 0, v0
	v_cmp_ne_u32_e64 s[0:1], 0, v0
	v_add_u32_e32 v15, -8, v13
	ds_write2st64_b64 v13, v[9:10], v[5:6] offset1:4
	s_waitcnt lgkmcnt(0)
	s_barrier
	s_and_saveexec_b64 s[2:3], s[0:1]
	s_cbranch_execz .LBB31_7
; %bb.4:
	ds_read_b64 v[11:12], v15
	s_waitcnt lgkmcnt(0)
	v_cmp_eq_u64_e32 vcc, v[9:10], v[11:12]
	s_and_saveexec_b64 s[6:7], vcc
	s_cbranch_execz .LBB31_6
; %bb.5:
	v_add_u32_e32 v4, -8, v14
	ds_read_b64 v[11:12], v4
	s_waitcnt lgkmcnt(0)
	v_add_f32_e32 v5, v5, v11
	v_add_f32_e32 v6, v6, v12
.LBB31_6:
	s_or_b64 exec, exec, s[6:7]
.LBB31_7:
	s_or_b64 exec, exec, s[2:3]
	v_cmp_lt_u32_e64 s[2:3], 1, v0
	v_add_u32_e32 v16, -16, v13
	s_barrier
	ds_write_b64 v14, v[5:6]
	s_waitcnt lgkmcnt(0)
	s_barrier
	s_and_saveexec_b64 s[6:7], s[2:3]
	s_cbranch_execz .LBB31_11
; %bb.8:
	ds_read_b64 v[11:12], v16
	s_waitcnt lgkmcnt(0)
	v_cmp_eq_u64_e32 vcc, v[9:10], v[11:12]
	s_and_saveexec_b64 s[8:9], vcc
	s_cbranch_execz .LBB31_10
; %bb.9:
	v_add_u32_e32 v4, -16, v14
	ds_read_b64 v[11:12], v4
	s_waitcnt lgkmcnt(0)
	v_add_f32_e32 v5, v5, v11
	v_add_f32_e32 v6, v6, v12
.LBB31_10:
	s_or_b64 exec, exec, s[8:9]
.LBB31_11:
	s_or_b64 exec, exec, s[6:7]
	v_cmp_lt_u32_e64 s[20:21], 3, v0
	v_subrev_u32_e32 v17, 32, v13
	s_barrier
	ds_write_b64 v14, v[5:6]
	s_waitcnt lgkmcnt(0)
	s_barrier
	s_and_saveexec_b64 s[6:7], s[20:21]
	s_cbranch_execz .LBB31_15
; %bb.12:
	ds_read_b64 v[11:12], v17
	s_waitcnt lgkmcnt(0)
	v_cmp_eq_u64_e32 vcc, v[9:10], v[11:12]
	s_and_saveexec_b64 s[8:9], vcc
	s_cbranch_execz .LBB31_14
; %bb.13:
	v_subrev_u32_e32 v4, 32, v14
	ds_read_b64 v[11:12], v4
	s_waitcnt lgkmcnt(0)
	v_add_f32_e32 v5, v5, v11
	v_add_f32_e32 v6, v6, v12
.LBB31_14:
	s_or_b64 exec, exec, s[8:9]
.LBB31_15:
	s_or_b64 exec, exec, s[6:7]
	v_cmp_lt_u32_e64 s[6:7], 7, v0
	v_subrev_u32_e32 v18, 64, v13
	s_barrier
	ds_write_b64 v14, v[5:6]
	s_waitcnt lgkmcnt(0)
	s_barrier
	s_and_saveexec_b64 s[8:9], s[6:7]
	s_cbranch_execz .LBB31_19
; %bb.16:
	ds_read_b64 v[11:12], v18
	s_waitcnt lgkmcnt(0)
	v_cmp_eq_u64_e32 vcc, v[9:10], v[11:12]
	s_and_saveexec_b64 s[10:11], vcc
	s_cbranch_execz .LBB31_18
; %bb.17:
	v_subrev_u32_e32 v4, 64, v14
	ds_read_b64 v[11:12], v4
	s_waitcnt lgkmcnt(0)
	v_add_f32_e32 v5, v5, v11
	v_add_f32_e32 v6, v6, v12
.LBB31_18:
	s_or_b64 exec, exec, s[10:11]
.LBB31_19:
	s_or_b64 exec, exec, s[8:9]
	v_cmp_lt_u32_e64 s[8:9], 15, v0
	s_barrier
	ds_write_b64 v14, v[5:6]
	s_waitcnt lgkmcnt(0)
	s_barrier
	s_and_saveexec_b64 s[10:11], s[8:9]
	s_cbranch_execz .LBB31_23
; %bb.20:
	v_add_u32_e32 v4, 0xffffff80, v13
	ds_read_b64 v[11:12], v4
	s_waitcnt lgkmcnt(0)
	v_cmp_eq_u64_e32 vcc, v[9:10], v[11:12]
	s_and_saveexec_b64 s[12:13], vcc
	s_cbranch_execz .LBB31_22
; %bb.21:
	v_add_u32_e32 v4, 0xffffff80, v14
	ds_read_b64 v[11:12], v4
	s_waitcnt lgkmcnt(0)
	v_add_f32_e32 v5, v5, v11
	v_add_f32_e32 v6, v6, v12
.LBB31_22:
	s_or_b64 exec, exec, s[12:13]
.LBB31_23:
	s_or_b64 exec, exec, s[10:11]
	v_cmp_lt_u32_e64 s[10:11], 31, v0
	s_barrier
	ds_write_b64 v14, v[5:6]
	s_waitcnt lgkmcnt(0)
	s_barrier
	s_and_saveexec_b64 s[12:13], s[10:11]
	s_cbranch_execz .LBB31_27
; %bb.24:
	v_add_u32_e32 v4, 0xffffff00, v13
	ds_read_b64 v[11:12], v4
	s_waitcnt lgkmcnt(0)
	v_cmp_eq_u64_e32 vcc, v[9:10], v[11:12]
	s_and_saveexec_b64 s[14:15], vcc
	s_cbranch_execz .LBB31_26
; %bb.25:
	v_add_u32_e32 v4, 0xffffff00, v14
	ds_read_b64 v[11:12], v4
	s_waitcnt lgkmcnt(0)
	v_add_f32_e32 v5, v5, v11
	v_add_f32_e32 v6, v6, v12
.LBB31_26:
	s_or_b64 exec, exec, s[14:15]
.LBB31_27:
	;; [unrolled: 24-line block ×3, first 2 shown]
	s_or_b64 exec, exec, s[14:15]
	s_load_dwordx2 s[22:23], s[4:5], 0x30
	s_movk_i32 s4, 0x7f
	v_cmp_lt_u32_e64 s[14:15], s4, v0
	s_waitcnt lgkmcnt(0)
	s_barrier
	ds_write_b64 v14, v[5:6]
	s_waitcnt lgkmcnt(0)
	s_barrier
	s_and_saveexec_b64 s[4:5], s[14:15]
	s_cbranch_execz .LBB31_35
; %bb.32:
	v_add_u32_e32 v4, 0xfffffc00, v13
	ds_read_b64 v[11:12], v4
	s_waitcnt lgkmcnt(0)
	v_cmp_eq_u64_e32 vcc, v[9:10], v[11:12]
	s_and_saveexec_b64 s[16:17], vcc
	s_cbranch_execz .LBB31_34
; %bb.33:
	v_add_u32_e32 v4, 0xfffffc00, v14
	ds_read_b64 v[11:12], v4
	s_waitcnt lgkmcnt(0)
	v_add_f32_e32 v5, v5, v11
	v_add_f32_e32 v6, v6, v12
.LBB31_34:
	s_or_b64 exec, exec, s[16:17]
.LBB31_35:
	s_or_b64 exec, exec, s[4:5]
	s_movk_i32 s4, 0xff
	v_cmp_gt_u32_e64 s[16:17], s4, v0
	s_barrier
	ds_write_b64 v14, v[5:6]
	s_waitcnt lgkmcnt(0)
	s_barrier
	s_and_saveexec_b64 s[38:39], s[16:17]
	s_cbranch_execz .LBB31_41
; %bb.36:
	ds_read_b64 v[11:12], v13 offset:8
	v_cmp_lt_i64_e64 s[4:5], -1, v[9:10]
	s_waitcnt lgkmcnt(0)
	v_cmp_ne_u64_e32 vcc, v[9:10], v[11:12]
	s_and_b64 s[4:5], s[4:5], vcc
	s_and_b64 exec, exec, s[4:5]
	s_cbranch_execz .LBB31_41
; %bb.37:
	v_lshlrev_b64 v[9:10], 3, v[9:10]
	v_mov_b32_e32 v4, s23
	v_add_co_u32_e32 v9, vcc, s22, v9
	v_addc_co_u32_e32 v10, vcc, v4, v10, vcc
	global_load_dword v12, v[9:10], off
	v_mul_f32_e64 v4, v6, -v2
	v_fmac_f32_e32 v4, v1, v5
	s_mov_b64 s[4:5], 0
.LBB31_38:                              ; =>This Inner Loop Header: Depth=1
	s_waitcnt vmcnt(0)
	v_add_f32_e32 v11, v12, v4
	global_atomic_cmpswap v11, v[9:10], v[11:12], off glc
	s_waitcnt vmcnt(0)
	v_cmp_eq_u32_e32 vcc, v11, v12
	s_or_b64 s[4:5], vcc, s[4:5]
	v_mov_b32_e32 v12, v11
	s_andn2_b64 exec, exec, s[4:5]
	s_cbranch_execnz .LBB31_38
; %bb.39:
	s_or_b64 exec, exec, s[4:5]
	global_load_dword v12, v[9:10], off offset:4
	v_mul_f32_e32 v4, v1, v6
	v_fmac_f32_e32 v4, v2, v5
	s_mov_b64 s[4:5], 0
.LBB31_40:                              ; =>This Inner Loop Header: Depth=1
	s_waitcnt vmcnt(0)
	v_add_f32_e32 v11, v12, v4
	global_atomic_cmpswap v5, v[9:10], v[11:12], off offset:4 glc
	s_waitcnt vmcnt(0)
	v_cmp_eq_u32_e32 vcc, v5, v12
	s_or_b64 s[4:5], vcc, s[4:5]
	v_mov_b32_e32 v12, v5
	s_andn2_b64 exec, exec, s[4:5]
	s_cbranch_execnz .LBB31_40
.LBB31_41:
	s_or_b64 exec, exec, s[38:39]
	v_add_co_u32_e32 v3, vcc, 0x100, v3
	v_addc_co_u32_e64 v4, s[4:5], 0, 0, vcc
	v_cmp_gt_i64_e32 vcc, s[36:37], v[3:4]
	v_mov_b32_e32 v5, -1
	v_mov_b32_e32 v6, -1
	v_mov_b32_e32 v3, 0
	v_mov_b32_e32 v4, 0
	s_and_saveexec_b64 s[4:5], vcc
	s_cbranch_execz .LBB31_43
; %bb.42:
	v_mov_b32_e32 v4, s27
	v_add_co_u32_e32 v3, vcc, s26, v7
	v_addc_co_u32_e32 v4, vcc, v4, v8, vcc
	global_load_dwordx2 v[3:4], v[3:4], off offset:2048 glc slc
	v_mov_b32_e32 v6, s25
	v_add_co_u32_e32 v5, vcc, s24, v7
	v_addc_co_u32_e32 v6, vcc, v6, v8, vcc
	v_mov_b32_e32 v9, s29
	v_add_co_u32_e32 v7, vcc, s28, v7
	v_addc_co_u32_e32 v8, vcc, v9, v8, vcc
	v_mov_b32_e32 v19, s31
	global_load_dwordx2 v[9:10], v[5:6], off offset:2048 glc slc
	global_load_dwordx2 v[11:12], v[7:8], off offset:2048 glc slc
	s_waitcnt vmcnt(2)
	v_subrev_co_u32_e32 v3, vcc, s34, v3
	v_subbrev_co_u32_e32 v4, vcc, 0, v4, vcc
	v_lshlrev_b64 v[3:4], 3, v[3:4]
	v_add_co_u32_e32 v3, vcc, s30, v3
	v_addc_co_u32_e32 v4, vcc, v19, v4, vcc
	global_load_dwordx2 v[7:8], v[3:4], off
	s_waitcnt vmcnt(2)
	v_subrev_co_u32_e32 v5, vcc, s34, v9
	v_subbrev_co_u32_e32 v6, vcc, 0, v10, vcc
	s_waitcnt vmcnt(0)
	v_mul_f32_e64 v3, v8, -v12
	v_mul_f32_e32 v4, v11, v8
	v_fmac_f32_e32 v3, v11, v7
	v_fmac_f32_e32 v4, v12, v7
.LBB31_43:
	s_or_b64 exec, exec, s[4:5]
	s_and_saveexec_b64 s[4:5], s[18:19]
	s_cbranch_execz .LBB31_62
; %bb.44:
	v_mov_b32_e32 v7, 0
	ds_read_b64 v[7:8], v7 offset:2040
	s_waitcnt lgkmcnt(0)
	v_cmp_ne_u64_e32 vcc, v[5:6], v[7:8]
	s_and_saveexec_b64 s[18:19], vcc
	s_xor_b64 s[18:19], exec, s[18:19]
	s_cbranch_execz .LBB31_59
; %bb.45:
	v_cmp_gt_i64_e32 vcc, 0, v[7:8]
	s_cbranch_vccnz .LBB31_59
; %bb.46:
	v_mov_b32_e32 v9, 0
	ds_read_b64 v[9:10], v9 offset:4088
	s_mov_b64 s[24:25], exec
	v_bfrev_b32_e32 v19, 1
	s_waitcnt lgkmcnt(0)
	v_mul_f32_e64 v11, v10, -v2
	v_fmac_f32_e32 v11, v1, v9
.LBB31_47:                              ; =>This Inner Loop Header: Depth=1
	s_ff1_i32_b64 s26, s[24:25]
	v_readlane_b32 s28, v11, s26
	s_lshl_b64 s[26:27], 1, s26
	s_andn2_b64 s[24:25], s[24:25], s[26:27]
	s_cmp_lg_u64 s[24:25], 0
	v_add_f32_e32 v19, s28, v19
	s_cbranch_scc1 .LBB31_47
; %bb.48:
	v_lshlrev_b64 v[7:8], 3, v[7:8]
	v_mov_b32_e32 v11, s23
	v_add_co_u32_e32 v7, vcc, s22, v7
	v_addc_co_u32_e32 v8, vcc, v11, v8, vcc
	v_mbcnt_lo_u32_b32 v11, exec_lo, 0
	v_mbcnt_hi_u32_b32 v11, exec_hi, v11
	v_cmp_eq_u32_e32 vcc, 0, v11
	s_and_saveexec_b64 s[24:25], vcc
	s_xor_b64 s[24:25], exec, s[24:25]
	s_cbranch_execz .LBB31_52
; %bb.49:
	global_load_dword v12, v[7:8], off
	s_mov_b64 s[26:27], 0
.LBB31_50:                              ; =>This Inner Loop Header: Depth=1
	s_waitcnt vmcnt(0)
	v_add_f32_e32 v11, v12, v19
	global_atomic_cmpswap v11, v[7:8], v[11:12], off glc
	s_waitcnt vmcnt(0)
	v_cmp_eq_u32_e32 vcc, v11, v12
	s_or_b64 s[26:27], vcc, s[26:27]
	v_mov_b32_e32 v12, v11
	s_andn2_b64 exec, exec, s[26:27]
	s_cbranch_execnz .LBB31_50
; %bb.51:
	s_or_b64 exec, exec, s[26:27]
.LBB31_52:
	s_or_b64 exec, exec, s[24:25]
	v_mul_f32_e32 v10, v1, v10
	s_mov_b64 s[24:25], exec
	v_fmac_f32_e32 v10, v2, v9
	v_bfrev_b32_e32 v11, 1
.LBB31_53:                              ; =>This Inner Loop Header: Depth=1
	s_ff1_i32_b64 s26, s[24:25]
	v_readlane_b32 s28, v10, s26
	s_lshl_b64 s[26:27], 1, s26
	s_andn2_b64 s[24:25], s[24:25], s[26:27]
	s_cmp_lg_u64 s[24:25], 0
	v_add_f32_e32 v11, s28, v11
	s_cbranch_scc1 .LBB31_53
; %bb.54:
	v_mbcnt_lo_u32_b32 v9, exec_lo, 0
	v_mbcnt_hi_u32_b32 v9, exec_hi, v9
	v_cmp_eq_u32_e32 vcc, 0, v9
	s_and_saveexec_b64 s[24:25], vcc
	s_xor_b64 s[24:25], exec, s[24:25]
	s_cbranch_execz .LBB31_58
; %bb.55:
	global_load_dword v10, v[7:8], off offset:4
	s_mov_b64 s[26:27], 0
.LBB31_56:                              ; =>This Inner Loop Header: Depth=1
	s_waitcnt vmcnt(0)
	v_add_f32_e32 v9, v10, v11
	global_atomic_cmpswap v9, v[7:8], v[9:10], off offset:4 glc
	s_waitcnt vmcnt(0)
	v_cmp_eq_u32_e32 vcc, v9, v10
	s_or_b64 s[26:27], vcc, s[26:27]
	v_mov_b32_e32 v10, v9
	s_andn2_b64 exec, exec, s[26:27]
	s_cbranch_execnz .LBB31_56
; %bb.57:
	s_or_b64 exec, exec, s[26:27]
.LBB31_58:
	s_or_b64 exec, exec, s[24:25]
.LBB31_59:
	s_andn2_saveexec_b64 s[18:19], s[18:19]
	s_cbranch_execz .LBB31_61
; %bb.60:
	v_mov_b32_e32 v7, 0
	ds_read_b64 v[7:8], v7 offset:4088
	s_waitcnt lgkmcnt(0)
	v_add_f32_e32 v3, v3, v7
	v_add_f32_e32 v4, v4, v8
.LBB31_61:
	s_or_b64 exec, exec, s[18:19]
.LBB31_62:
	s_or_b64 exec, exec, s[4:5]
	s_barrier
	ds_write_b64 v13, v[5:6]
	ds_write_b64 v14, v[3:4]
	s_waitcnt lgkmcnt(0)
	s_barrier
	s_and_saveexec_b64 s[4:5], s[0:1]
	s_cbranch_execz .LBB31_66
; %bb.63:
	ds_read_b64 v[7:8], v15
	s_waitcnt lgkmcnt(0)
	v_cmp_eq_u64_e32 vcc, v[5:6], v[7:8]
	s_and_saveexec_b64 s[0:1], vcc
	s_cbranch_execz .LBB31_65
; %bb.64:
	v_add_u32_e32 v7, -8, v14
	ds_read_b64 v[7:8], v7
	s_waitcnt lgkmcnt(0)
	v_add_f32_e32 v3, v3, v7
	v_add_f32_e32 v4, v4, v8
.LBB31_65:
	s_or_b64 exec, exec, s[0:1]
.LBB31_66:
	s_or_b64 exec, exec, s[4:5]
	s_barrier
	ds_write_b64 v14, v[3:4]
	s_waitcnt lgkmcnt(0)
	s_barrier
	s_and_saveexec_b64 s[0:1], s[2:3]
	s_cbranch_execz .LBB31_70
; %bb.67:
	ds_read_b64 v[7:8], v16
	s_waitcnt lgkmcnt(0)
	v_cmp_eq_u64_e32 vcc, v[5:6], v[7:8]
	s_and_saveexec_b64 s[2:3], vcc
	s_cbranch_execz .LBB31_69
; %bb.68:
	v_add_u32_e32 v7, -16, v14
	ds_read_b64 v[7:8], v7
	s_waitcnt lgkmcnt(0)
	v_add_f32_e32 v3, v3, v7
	v_add_f32_e32 v4, v4, v8
.LBB31_69:
	s_or_b64 exec, exec, s[2:3]
.LBB31_70:
	s_or_b64 exec, exec, s[0:1]
	s_barrier
	ds_write_b64 v14, v[3:4]
	s_waitcnt lgkmcnt(0)
	s_barrier
	s_and_saveexec_b64 s[0:1], s[20:21]
	s_cbranch_execz .LBB31_74
; %bb.71:
	ds_read_b64 v[7:8], v17
	s_waitcnt lgkmcnt(0)
	v_cmp_eq_u64_e32 vcc, v[5:6], v[7:8]
	s_and_saveexec_b64 s[2:3], vcc
	s_cbranch_execz .LBB31_73
; %bb.72:
	v_subrev_u32_e32 v7, 32, v14
	ds_read_b64 v[7:8], v7
	s_waitcnt lgkmcnt(0)
	v_add_f32_e32 v3, v3, v7
	v_add_f32_e32 v4, v4, v8
.LBB31_73:
	s_or_b64 exec, exec, s[2:3]
.LBB31_74:
	s_or_b64 exec, exec, s[0:1]
	s_barrier
	ds_write_b64 v14, v[3:4]
	s_waitcnt lgkmcnt(0)
	s_barrier
	s_and_saveexec_b64 s[0:1], s[6:7]
	s_cbranch_execz .LBB31_78
; %bb.75:
	ds_read_b64 v[7:8], v18
	s_waitcnt lgkmcnt(0)
	v_cmp_eq_u64_e32 vcc, v[5:6], v[7:8]
	s_and_saveexec_b64 s[2:3], vcc
	s_cbranch_execz .LBB31_77
; %bb.76:
	v_subrev_u32_e32 v7, 64, v14
	ds_read_b64 v[7:8], v7
	s_waitcnt lgkmcnt(0)
	v_add_f32_e32 v3, v3, v7
	v_add_f32_e32 v4, v4, v8
.LBB31_77:
	s_or_b64 exec, exec, s[2:3]
.LBB31_78:
	s_or_b64 exec, exec, s[0:1]
	s_barrier
	ds_write_b64 v14, v[3:4]
	s_waitcnt lgkmcnt(0)
	s_barrier
	s_and_saveexec_b64 s[0:1], s[8:9]
	s_cbranch_execz .LBB31_82
; %bb.79:
	v_add_u32_e32 v7, 0xffffff80, v13
	ds_read_b64 v[7:8], v7
	s_waitcnt lgkmcnt(0)
	v_cmp_eq_u64_e32 vcc, v[5:6], v[7:8]
	s_and_saveexec_b64 s[2:3], vcc
	s_cbranch_execz .LBB31_81
; %bb.80:
	v_add_u32_e32 v7, 0xffffff80, v14
	ds_read_b64 v[7:8], v7
	s_waitcnt lgkmcnt(0)
	v_add_f32_e32 v3, v3, v7
	v_add_f32_e32 v4, v4, v8
.LBB31_81:
	s_or_b64 exec, exec, s[2:3]
.LBB31_82:
	s_or_b64 exec, exec, s[0:1]
	s_barrier
	ds_write_b64 v14, v[3:4]
	s_waitcnt lgkmcnt(0)
	s_barrier
	s_and_saveexec_b64 s[0:1], s[10:11]
	s_cbranch_execz .LBB31_86
; %bb.83:
	v_add_u32_e32 v7, 0xffffff00, v13
	ds_read_b64 v[7:8], v7
	s_waitcnt lgkmcnt(0)
	v_cmp_eq_u64_e32 vcc, v[5:6], v[7:8]
	s_and_saveexec_b64 s[2:3], vcc
	s_cbranch_execz .LBB31_85
; %bb.84:
	v_add_u32_e32 v7, 0xffffff00, v14
	ds_read_b64 v[7:8], v7
	s_waitcnt lgkmcnt(0)
	v_add_f32_e32 v3, v3, v7
	v_add_f32_e32 v4, v4, v8
.LBB31_85:
	s_or_b64 exec, exec, s[2:3]
.LBB31_86:
	;; [unrolled: 23-line block ×4, first 2 shown]
	s_or_b64 exec, exec, s[0:1]
	s_barrier
	ds_write_b64 v14, v[3:4]
	s_waitcnt lgkmcnt(0)
	s_barrier
	s_and_saveexec_b64 s[2:3], s[16:17]
	s_cbranch_execz .LBB31_100
; %bb.95:
	ds_read_b64 v[7:8], v13 offset:8
	v_cmp_lt_i64_e64 s[0:1], -1, v[5:6]
	s_waitcnt lgkmcnt(0)
	v_cmp_ne_u64_e32 vcc, v[5:6], v[7:8]
	s_and_b64 s[0:1], s[0:1], vcc
	s_and_b64 exec, exec, s[0:1]
	s_cbranch_execz .LBB31_100
; %bb.96:
	v_lshlrev_b64 v[7:8], 3, v[5:6]
	v_mov_b32_e32 v9, s23
	v_add_co_u32_e32 v7, vcc, s22, v7
	v_addc_co_u32_e32 v8, vcc, v9, v8, vcc
	global_load_dword v10, v[7:8], off
	v_mul_f32_e64 v11, v4, -v2
	v_fmac_f32_e32 v11, v1, v3
	s_mov_b64 s[0:1], 0
.LBB31_97:                              ; =>This Inner Loop Header: Depth=1
	s_waitcnt vmcnt(0)
	v_add_f32_e32 v9, v10, v11
	global_atomic_cmpswap v9, v[7:8], v[9:10], off glc
	s_waitcnt vmcnt(0)
	v_cmp_eq_u32_e32 vcc, v9, v10
	s_or_b64 s[0:1], vcc, s[0:1]
	v_mov_b32_e32 v10, v9
	s_andn2_b64 exec, exec, s[0:1]
	s_cbranch_execnz .LBB31_97
; %bb.98:
	s_or_b64 exec, exec, s[0:1]
	global_load_dword v10, v[7:8], off offset:4
	v_mul_f32_e32 v11, v1, v4
	v_fmac_f32_e32 v11, v2, v3
	s_mov_b64 s[0:1], 0
.LBB31_99:                              ; =>This Inner Loop Header: Depth=1
	s_waitcnt vmcnt(0)
	v_add_f32_e32 v9, v10, v11
	global_atomic_cmpswap v9, v[7:8], v[9:10], off offset:4 glc
	s_waitcnt vmcnt(0)
	v_cmp_eq_u32_e32 vcc, v9, v10
	s_or_b64 s[0:1], vcc, s[0:1]
	v_mov_b32_e32 v10, v9
	s_andn2_b64 exec, exec, s[0:1]
	s_cbranch_execnz .LBB31_99
.LBB31_100:
	s_or_b64 exec, exec, s[2:3]
	s_movk_i32 s0, 0xff
	v_cmp_lt_i64_e32 vcc, -1, v[5:6]
	v_cmp_eq_u32_e64 s[0:1], s0, v0
	s_and_b64 s[0:1], s[0:1], vcc
	s_and_b64 exec, exec, s[0:1]
	s_cbranch_execz .LBB31_105
; %bb.101:
	v_lshlrev_b64 v[5:6], 3, v[5:6]
	v_mov_b32_e32 v0, s23
	v_add_co_u32_e32 v5, vcc, s22, v5
	v_addc_co_u32_e32 v6, vcc, v0, v6, vcc
	global_load_dword v8, v[5:6], off
	v_mul_f32_e64 v0, v4, -v2
	v_fmac_f32_e32 v0, v1, v3
	s_mov_b64 s[0:1], 0
.LBB31_102:                             ; =>This Inner Loop Header: Depth=1
	s_waitcnt vmcnt(0)
	v_add_f32_e32 v7, v8, v0
	global_atomic_cmpswap v7, v[5:6], v[7:8], off glc
	s_waitcnt vmcnt(0)
	v_cmp_eq_u32_e32 vcc, v7, v8
	s_or_b64 s[0:1], vcc, s[0:1]
	v_mov_b32_e32 v8, v7
	s_andn2_b64 exec, exec, s[0:1]
	s_cbranch_execnz .LBB31_102
; %bb.103:
	s_or_b64 exec, exec, s[0:1]
	global_load_dword v8, v[5:6], off offset:4
	v_mul_f32_e32 v0, v1, v4
	v_fmac_f32_e32 v0, v2, v3
	s_mov_b64 s[0:1], 0
.LBB31_104:                             ; =>This Inner Loop Header: Depth=1
	s_waitcnt vmcnt(0)
	v_add_f32_e32 v7, v8, v0
	global_atomic_cmpswap v1, v[5:6], v[7:8], off offset:4 glc
	s_waitcnt vmcnt(0)
	v_cmp_eq_u32_e32 vcc, v1, v8
	s_or_b64 s[0:1], vcc, s[0:1]
	v_mov_b32_e32 v8, v1
	s_andn2_b64 exec, exec, s[0:1]
	s_cbranch_execnz .LBB31_104
.LBB31_105:
	s_endpgm
	.section	.rodata,"a",@progbits
	.p2align	6, 0x0
	.amdhsa_kernel _ZN9rocsparseL19coomvn_atomic_loopsILj256ELj2El21rocsparse_complex_numIfES2_S2_S2_EEvlNS_24const_host_device_scalarIT5_EEPKT1_S8_PKT2_PKT3_PT4_21rocsparse_index_base_b
		.amdhsa_group_segment_fixed_size 4096
		.amdhsa_private_segment_fixed_size 0
		.amdhsa_kernarg_size 64
		.amdhsa_user_sgpr_count 6
		.amdhsa_user_sgpr_private_segment_buffer 1
		.amdhsa_user_sgpr_dispatch_ptr 0
		.amdhsa_user_sgpr_queue_ptr 0
		.amdhsa_user_sgpr_kernarg_segment_ptr 1
		.amdhsa_user_sgpr_dispatch_id 0
		.amdhsa_user_sgpr_flat_scratch_init 0
		.amdhsa_user_sgpr_private_segment_size 0
		.amdhsa_uses_dynamic_stack 0
		.amdhsa_system_sgpr_private_segment_wavefront_offset 0
		.amdhsa_system_sgpr_workgroup_id_x 1
		.amdhsa_system_sgpr_workgroup_id_y 0
		.amdhsa_system_sgpr_workgroup_id_z 0
		.amdhsa_system_sgpr_workgroup_info 0
		.amdhsa_system_vgpr_workitem_id 0
		.amdhsa_next_free_vgpr 20
		.amdhsa_next_free_sgpr 40
		.amdhsa_reserve_vcc 1
		.amdhsa_reserve_flat_scratch 0
		.amdhsa_float_round_mode_32 0
		.amdhsa_float_round_mode_16_64 0
		.amdhsa_float_denorm_mode_32 3
		.amdhsa_float_denorm_mode_16_64 3
		.amdhsa_dx10_clamp 1
		.amdhsa_ieee_mode 1
		.amdhsa_fp16_overflow 0
		.amdhsa_exception_fp_ieee_invalid_op 0
		.amdhsa_exception_fp_denorm_src 0
		.amdhsa_exception_fp_ieee_div_zero 0
		.amdhsa_exception_fp_ieee_overflow 0
		.amdhsa_exception_fp_ieee_underflow 0
		.amdhsa_exception_fp_ieee_inexact 0
		.amdhsa_exception_int_div_zero 0
	.end_amdhsa_kernel
	.section	.text._ZN9rocsparseL19coomvn_atomic_loopsILj256ELj2El21rocsparse_complex_numIfES2_S2_S2_EEvlNS_24const_host_device_scalarIT5_EEPKT1_S8_PKT2_PKT3_PT4_21rocsparse_index_base_b,"axG",@progbits,_ZN9rocsparseL19coomvn_atomic_loopsILj256ELj2El21rocsparse_complex_numIfES2_S2_S2_EEvlNS_24const_host_device_scalarIT5_EEPKT1_S8_PKT2_PKT3_PT4_21rocsparse_index_base_b,comdat
.Lfunc_end31:
	.size	_ZN9rocsparseL19coomvn_atomic_loopsILj256ELj2El21rocsparse_complex_numIfES2_S2_S2_EEvlNS_24const_host_device_scalarIT5_EEPKT1_S8_PKT2_PKT3_PT4_21rocsparse_index_base_b, .Lfunc_end31-_ZN9rocsparseL19coomvn_atomic_loopsILj256ELj2El21rocsparse_complex_numIfES2_S2_S2_EEvlNS_24const_host_device_scalarIT5_EEPKT1_S8_PKT2_PKT3_PT4_21rocsparse_index_base_b
                                        ; -- End function
	.set _ZN9rocsparseL19coomvn_atomic_loopsILj256ELj2El21rocsparse_complex_numIfES2_S2_S2_EEvlNS_24const_host_device_scalarIT5_EEPKT1_S8_PKT2_PKT3_PT4_21rocsparse_index_base_b.num_vgpr, 20
	.set _ZN9rocsparseL19coomvn_atomic_loopsILj256ELj2El21rocsparse_complex_numIfES2_S2_S2_EEvlNS_24const_host_device_scalarIT5_EEPKT1_S8_PKT2_PKT3_PT4_21rocsparse_index_base_b.num_agpr, 0
	.set _ZN9rocsparseL19coomvn_atomic_loopsILj256ELj2El21rocsparse_complex_numIfES2_S2_S2_EEvlNS_24const_host_device_scalarIT5_EEPKT1_S8_PKT2_PKT3_PT4_21rocsparse_index_base_b.numbered_sgpr, 40
	.set _ZN9rocsparseL19coomvn_atomic_loopsILj256ELj2El21rocsparse_complex_numIfES2_S2_S2_EEvlNS_24const_host_device_scalarIT5_EEPKT1_S8_PKT2_PKT3_PT4_21rocsparse_index_base_b.num_named_barrier, 0
	.set _ZN9rocsparseL19coomvn_atomic_loopsILj256ELj2El21rocsparse_complex_numIfES2_S2_S2_EEvlNS_24const_host_device_scalarIT5_EEPKT1_S8_PKT2_PKT3_PT4_21rocsparse_index_base_b.private_seg_size, 0
	.set _ZN9rocsparseL19coomvn_atomic_loopsILj256ELj2El21rocsparse_complex_numIfES2_S2_S2_EEvlNS_24const_host_device_scalarIT5_EEPKT1_S8_PKT2_PKT3_PT4_21rocsparse_index_base_b.uses_vcc, 1
	.set _ZN9rocsparseL19coomvn_atomic_loopsILj256ELj2El21rocsparse_complex_numIfES2_S2_S2_EEvlNS_24const_host_device_scalarIT5_EEPKT1_S8_PKT2_PKT3_PT4_21rocsparse_index_base_b.uses_flat_scratch, 0
	.set _ZN9rocsparseL19coomvn_atomic_loopsILj256ELj2El21rocsparse_complex_numIfES2_S2_S2_EEvlNS_24const_host_device_scalarIT5_EEPKT1_S8_PKT2_PKT3_PT4_21rocsparse_index_base_b.has_dyn_sized_stack, 0
	.set _ZN9rocsparseL19coomvn_atomic_loopsILj256ELj2El21rocsparse_complex_numIfES2_S2_S2_EEvlNS_24const_host_device_scalarIT5_EEPKT1_S8_PKT2_PKT3_PT4_21rocsparse_index_base_b.has_recursion, 0
	.set _ZN9rocsparseL19coomvn_atomic_loopsILj256ELj2El21rocsparse_complex_numIfES2_S2_S2_EEvlNS_24const_host_device_scalarIT5_EEPKT1_S8_PKT2_PKT3_PT4_21rocsparse_index_base_b.has_indirect_call, 0
	.section	.AMDGPU.csdata,"",@progbits
; Kernel info:
; codeLenInByte = 3056
; TotalNumSgprs: 44
; NumVgprs: 20
; ScratchSize: 0
; MemoryBound: 0
; FloatMode: 240
; IeeeMode: 1
; LDSByteSize: 4096 bytes/workgroup (compile time only)
; SGPRBlocks: 5
; VGPRBlocks: 4
; NumSGPRsForWavesPerEU: 44
; NumVGPRsForWavesPerEU: 20
; Occupancy: 10
; WaveLimiterHint : 1
; COMPUTE_PGM_RSRC2:SCRATCH_EN: 0
; COMPUTE_PGM_RSRC2:USER_SGPR: 6
; COMPUTE_PGM_RSRC2:TRAP_HANDLER: 0
; COMPUTE_PGM_RSRC2:TGID_X_EN: 1
; COMPUTE_PGM_RSRC2:TGID_Y_EN: 0
; COMPUTE_PGM_RSRC2:TGID_Z_EN: 0
; COMPUTE_PGM_RSRC2:TIDIG_COMP_CNT: 0
	.section	.text._ZN9rocsparseL22coomvn_segmented_loopsILj256Ei21rocsparse_complex_numIdES2_S2_S2_EEvlT0_NS_24const_host_device_scalarIT4_EEPKS3_S8_PKT1_PKT2_PT3_PS3_PS5_21rocsparse_index_base_b,"axG",@progbits,_ZN9rocsparseL22coomvn_segmented_loopsILj256Ei21rocsparse_complex_numIdES2_S2_S2_EEvlT0_NS_24const_host_device_scalarIT4_EEPKS3_S8_PKT1_PKT2_PT3_PS3_PS5_21rocsparse_index_base_b,comdat
	.globl	_ZN9rocsparseL22coomvn_segmented_loopsILj256Ei21rocsparse_complex_numIdES2_S2_S2_EEvlT0_NS_24const_host_device_scalarIT4_EEPKS3_S8_PKT1_PKT2_PT3_PS3_PS5_21rocsparse_index_base_b ; -- Begin function _ZN9rocsparseL22coomvn_segmented_loopsILj256Ei21rocsparse_complex_numIdES2_S2_S2_EEvlT0_NS_24const_host_device_scalarIT4_EEPKS3_S8_PKT1_PKT2_PT3_PS3_PS5_21rocsparse_index_base_b
	.p2align	8
	.type	_ZN9rocsparseL22coomvn_segmented_loopsILj256Ei21rocsparse_complex_numIdES2_S2_S2_EEvlT0_NS_24const_host_device_scalarIT4_EEPKS3_S8_PKT1_PKT2_PT3_PS3_PS5_21rocsparse_index_base_b,@function
_ZN9rocsparseL22coomvn_segmented_loopsILj256Ei21rocsparse_complex_numIdES2_S2_S2_EEvlT0_NS_24const_host_device_scalarIT4_EEPKS3_S8_PKT1_PKT2_PT3_PS3_PS5_21rocsparse_index_base_b: ; @_ZN9rocsparseL22coomvn_segmented_loopsILj256Ei21rocsparse_complex_numIdES2_S2_S2_EEvlT0_NS_24const_host_device_scalarIT4_EEPKS3_S8_PKT1_PKT2_PT3_PS3_PS5_21rocsparse_index_base_b
; %bb.0:
	s_load_dwordx2 s[28:29], s[4:5], 0x58
	s_load_dwordx2 s[0:1], s[4:5], 0x10
	s_add_u32 s2, s4, 16
	s_addc_u32 s3, s5, 0
	s_waitcnt lgkmcnt(0)
	s_bitcmp1_b32 s29, 0
	s_cselect_b32 s1, s3, s1
	s_cselect_b32 s0, s2, s0
	v_mov_b32_e32 v1, s0
	v_mov_b32_e32 v2, s1
	flat_load_dwordx4 v[1:4], v[1:2]
	s_waitcnt vmcnt(0) lgkmcnt(0)
	v_cmp_neq_f64_e32 vcc, 0, v[1:2]
	v_cmp_neq_f64_e64 s[0:1], 0, v[3:4]
	s_or_b64 s[0:1], vcc, s[0:1]
	s_and_saveexec_b64 s[2:3], s[0:1]
	s_cbranch_execz .LBB32_87
; %bb.1:
	s_load_dword s33, s[4:5], 0x8
	s_load_dwordx2 s[30:31], s[4:5], 0x0
	s_load_dwordx8 s[36:43], s[4:5], 0x20
	v_mov_b32_e32 v5, 0
	v_mov_b32_e32 v18, 0
	s_waitcnt lgkmcnt(0)
	s_mul_i32 s0, s6, s33
	v_lshl_or_b32 v17, s0, 8, v0
	v_mov_b32_e32 v6, 0
	v_cmp_gt_i64_e32 vcc, s[30:31], v[17:18]
	v_lshlrev_b64 v[11:12], 2, v[17:18]
	v_lshlrev_b64 v[15:16], 4, v[17:18]
	v_mov_b32_e32 v8, v6
	v_mov_b32_e32 v9, -1
	v_mov_b32_e32 v7, v5
	s_and_saveexec_b64 s[0:1], vcc
	s_cbranch_execz .LBB32_3
; %bb.2:
	v_mov_b32_e32 v6, s39
	v_add_co_u32_e32 v5, vcc, s38, v11
	v_addc_co_u32_e32 v6, vcc, v6, v12, vcc
	global_load_dword v9, v[5:6], off glc slc
	v_mov_b32_e32 v6, s41
	v_add_co_u32_e32 v5, vcc, s40, v15
	v_addc_co_u32_e32 v6, vcc, v6, v16, vcc
	v_mov_b32_e32 v13, s43
	s_ashr_i32 s29, s28, 31
	s_lshl_b64 s[2:3], s[28:29], 4
	v_mov_b32_e32 v14, s3
	global_load_dwordx4 v[5:8], v[5:6], off glc slc
	s_waitcnt vmcnt(1)
	v_ashrrev_i32_e32 v10, 31, v9
	v_lshlrev_b64 v[9:10], 4, v[9:10]
	v_add_co_u32_e32 v9, vcc, s42, v9
	v_addc_co_u32_e32 v10, vcc, v13, v10, vcc
	v_subrev_co_u32_e32 v9, vcc, s2, v9
	v_subb_co_u32_e32 v10, vcc, v10, v14, vcc
	global_load_dwordx4 v[18:21], v[9:10], off
	v_mov_b32_e32 v10, s37
	v_add_co_u32_e32 v9, vcc, s36, v11
	v_addc_co_u32_e32 v10, vcc, v10, v12, vcc
	global_load_dword v22, v[9:10], off glc slc
	s_waitcnt vmcnt(1)
	v_mul_f64 v[9:10], v[20:21], -v[7:8]
	v_mul_f64 v[13:14], v[5:6], v[20:21]
	v_fma_f64 v[5:6], v[5:6], v[18:19], v[9:10]
	v_fma_f64 v[7:8], v[7:8], v[18:19], v[13:14]
	s_waitcnt vmcnt(0)
	v_subrev_u32_e32 v9, s28, v22
.LBB32_3:
	s_or_b64 exec, exec, s[0:1]
	v_lshlrev_b32_e32 v10, 2, v0
	v_or_b32_e32 v19, 0x1000, v10
	v_lshlrev_b32_e32 v20, 4, v0
	v_cmp_eq_u32_e64 s[0:1], 0, v0
	v_cmp_ne_u32_e64 s[2:3], 0, v0
	v_add_u32_e32 v21, -4, v19
	ds_write_b32 v10, v9 offset:4096
	ds_write_b128 v20, v[5:8]
	s_waitcnt lgkmcnt(0)
	s_barrier
	s_and_saveexec_b64 s[8:9], s[2:3]
	s_cbranch_execz .LBB32_7
; %bb.4:
	ds_read_b32 v10, v21
	s_waitcnt lgkmcnt(0)
	v_cmp_eq_u32_e32 vcc, v9, v10
	s_and_saveexec_b64 s[10:11], vcc
	s_cbranch_execz .LBB32_6
; %bb.5:
	v_add_u32_e32 v10, -16, v20
	ds_read_b128 v[22:25], v10
	s_waitcnt lgkmcnt(0)
	v_add_f64 v[5:6], v[5:6], v[22:23]
	v_add_f64 v[7:8], v[7:8], v[24:25]
.LBB32_6:
	s_or_b64 exec, exec, s[10:11]
.LBB32_7:
	s_or_b64 exec, exec, s[8:9]
	v_cmp_lt_u32_e64 s[22:23], 1, v0
	v_add_u32_e32 v22, -8, v19
	s_barrier
	ds_write_b128 v20, v[5:8]
	s_waitcnt lgkmcnt(0)
	s_barrier
	s_and_saveexec_b64 s[8:9], s[22:23]
	s_cbranch_execz .LBB32_11
; %bb.8:
	ds_read_b32 v10, v22
	s_waitcnt lgkmcnt(0)
	v_cmp_eq_u32_e32 vcc, v9, v10
	s_and_saveexec_b64 s[10:11], vcc
	s_cbranch_execz .LBB32_10
; %bb.9:
	v_subrev_u32_e32 v10, 32, v20
	ds_read_b128 v[23:26], v10
	s_waitcnt lgkmcnt(0)
	v_add_f64 v[5:6], v[5:6], v[23:24]
	v_add_f64 v[7:8], v[7:8], v[25:26]
.LBB32_10:
	s_or_b64 exec, exec, s[10:11]
.LBB32_11:
	s_or_b64 exec, exec, s[8:9]
	v_cmp_lt_u32_e64 s[8:9], 3, v0
	v_add_u32_e32 v23, -16, v19
	s_barrier
	ds_write_b128 v20, v[5:8]
	s_waitcnt lgkmcnt(0)
	s_barrier
	s_and_saveexec_b64 s[10:11], s[8:9]
	s_cbranch_execz .LBB32_15
; %bb.12:
	ds_read_b32 v10, v23
	s_waitcnt lgkmcnt(0)
	v_cmp_eq_u32_e32 vcc, v9, v10
	s_and_saveexec_b64 s[12:13], vcc
	s_cbranch_execz .LBB32_14
; %bb.13:
	v_subrev_u32_e32 v10, 64, v20
	ds_read_b128 v[24:27], v10
	s_waitcnt lgkmcnt(0)
	v_add_f64 v[5:6], v[5:6], v[24:25]
	v_add_f64 v[7:8], v[7:8], v[26:27]
.LBB32_14:
	s_or_b64 exec, exec, s[12:13]
.LBB32_15:
	s_or_b64 exec, exec, s[10:11]
	v_cmp_lt_u32_e64 s[10:11], 7, v0
	v_subrev_u32_e32 v24, 32, v19
	s_barrier
	ds_write_b128 v20, v[5:8]
	s_waitcnt lgkmcnt(0)
	s_barrier
	s_and_saveexec_b64 s[12:13], s[10:11]
	s_cbranch_execz .LBB32_19
; %bb.16:
	ds_read_b32 v10, v24
	s_waitcnt lgkmcnt(0)
	v_cmp_eq_u32_e32 vcc, v9, v10
	s_and_saveexec_b64 s[14:15], vcc
	s_cbranch_execz .LBB32_18
; %bb.17:
	v_add_u32_e32 v10, 0xffffff80, v20
	ds_read_b128 v[25:28], v10
	s_waitcnt lgkmcnt(0)
	v_add_f64 v[5:6], v[5:6], v[25:26]
	v_add_f64 v[7:8], v[7:8], v[27:28]
.LBB32_18:
	s_or_b64 exec, exec, s[14:15]
.LBB32_19:
	s_or_b64 exec, exec, s[12:13]
	v_cmp_lt_u32_e64 s[12:13], 15, v0
	v_subrev_u32_e32 v25, 64, v19
	s_barrier
	ds_write_b128 v20, v[5:8]
	s_waitcnt lgkmcnt(0)
	s_barrier
	s_and_saveexec_b64 s[14:15], s[12:13]
	s_cbranch_execz .LBB32_23
; %bb.20:
	ds_read_b32 v10, v25
	s_waitcnt lgkmcnt(0)
	v_cmp_eq_u32_e32 vcc, v9, v10
	s_and_saveexec_b64 s[16:17], vcc
	s_cbranch_execz .LBB32_22
; %bb.21:
	v_add_u32_e32 v10, 0xffffff00, v20
	ds_read_b128 v[26:29], v10
	s_waitcnt lgkmcnt(0)
	v_add_f64 v[5:6], v[5:6], v[26:27]
	v_add_f64 v[7:8], v[7:8], v[28:29]
.LBB32_22:
	s_or_b64 exec, exec, s[16:17]
.LBB32_23:
	s_or_b64 exec, exec, s[14:15]
	v_cmp_lt_u32_e64 s[14:15], 31, v0
	s_barrier
	ds_write_b128 v20, v[5:8]
	s_waitcnt lgkmcnt(0)
	s_barrier
	s_and_saveexec_b64 s[16:17], s[14:15]
	s_cbranch_execz .LBB32_27
; %bb.24:
	v_add_u32_e32 v10, 0xffffff80, v19
	ds_read_b32 v10, v10
	s_waitcnt lgkmcnt(0)
	v_cmp_eq_u32_e32 vcc, v9, v10
	s_and_saveexec_b64 s[18:19], vcc
	s_cbranch_execz .LBB32_26
; %bb.25:
	v_add_u32_e32 v10, 0xfffffe00, v20
	ds_read_b128 v[26:29], v10
	s_waitcnt lgkmcnt(0)
	v_add_f64 v[5:6], v[5:6], v[26:27]
	v_add_f64 v[7:8], v[7:8], v[28:29]
.LBB32_26:
	s_or_b64 exec, exec, s[18:19]
.LBB32_27:
	s_or_b64 exec, exec, s[16:17]
	v_cmp_lt_u32_e64 s[16:17], 63, v0
	s_barrier
	ds_write_b128 v20, v[5:8]
	s_waitcnt lgkmcnt(0)
	s_barrier
	s_and_saveexec_b64 s[18:19], s[16:17]
	s_cbranch_execz .LBB32_31
; %bb.28:
	v_add_u32_e32 v10, 0xffffff00, v19
	ds_read_b32 v10, v10
	s_waitcnt lgkmcnt(0)
	v_cmp_eq_u32_e32 vcc, v9, v10
	s_and_saveexec_b64 s[20:21], vcc
	s_cbranch_execz .LBB32_30
; %bb.29:
	v_add_u32_e32 v10, 0xfffffc00, v20
	ds_read_b128 v[26:29], v10
	s_waitcnt lgkmcnt(0)
	v_add_f64 v[5:6], v[5:6], v[26:27]
	v_add_f64 v[7:8], v[7:8], v[28:29]
.LBB32_30:
	s_or_b64 exec, exec, s[20:21]
.LBB32_31:
	s_or_b64 exec, exec, s[18:19]
	s_load_dwordx2 s[34:35], s[4:5], 0x40
	s_movk_i32 s7, 0x7f
	v_cmp_lt_u32_e64 s[18:19], s7, v0
	s_waitcnt lgkmcnt(0)
	s_barrier
	ds_write_b128 v20, v[5:8]
	s_waitcnt lgkmcnt(0)
	s_barrier
	s_and_saveexec_b64 s[20:21], s[18:19]
	s_cbranch_execz .LBB32_35
; %bb.32:
	v_add_u32_e32 v10, 0xfffffe00, v19
	ds_read_b32 v10, v10
	s_waitcnt lgkmcnt(0)
	v_cmp_eq_u32_e32 vcc, v9, v10
	s_and_saveexec_b64 s[24:25], vcc
	s_cbranch_execz .LBB32_34
; %bb.33:
	v_add_u32_e32 v10, 0xfffff800, v20
	ds_read_b128 v[26:29], v10
	s_waitcnt lgkmcnt(0)
	v_add_f64 v[5:6], v[5:6], v[26:27]
	v_add_f64 v[7:8], v[7:8], v[28:29]
.LBB32_34:
	s_or_b64 exec, exec, s[24:25]
.LBB32_35:
	s_or_b64 exec, exec, s[20:21]
	s_movk_i32 s7, 0xff
	v_cmp_gt_u32_e64 s[20:21], s7, v0
	s_barrier
	ds_write_b128 v20, v[5:8]
	s_waitcnt lgkmcnt(0)
	s_barrier
	s_and_saveexec_b64 s[26:27], s[20:21]
	s_cbranch_execz .LBB32_38
; %bb.36:
	ds_read_b32 v10, v19 offset:4
	v_cmp_lt_i32_e64 s[24:25], -1, v9
	s_waitcnt lgkmcnt(0)
	v_cmp_ne_u32_e32 vcc, v9, v10
	s_and_b64 s[24:25], s[24:25], vcc
	s_and_b64 exec, exec, s[24:25]
	s_cbranch_execz .LBB32_38
; %bb.37:
	v_mov_b32_e32 v10, 0
	v_lshlrev_b64 v[13:14], 4, v[9:10]
	v_mov_b32_e32 v10, s35
	v_add_co_u32_e32 v13, vcc, s34, v13
	v_addc_co_u32_e32 v14, vcc, v10, v14, vcc
	global_load_dwordx4 v[26:29], v[13:14], off
	s_waitcnt vmcnt(0)
	v_fma_f64 v[26:27], v[1:2], v[5:6], v[26:27]
	v_fma_f64 v[28:29], v[3:4], v[5:6], v[28:29]
	v_fma_f64 v[26:27], -v[3:4], v[7:8], v[26:27]
	v_fma_f64 v[28:29], v[1:2], v[7:8], v[28:29]
	global_store_dwordx4 v[13:14], v[26:29], off
.LBB32_38:
	s_or_b64 exec, exec, s[26:27]
	s_load_dwordx4 s[24:27], s[4:5], 0x48
	s_cmp_lt_i32 s33, 2
	s_cbranch_scc1 .LBB32_85
; %bb.39:
	s_ashr_i32 s29, s28, 31
	s_lshl_b64 s[4:5], s[28:29], 4
	s_sub_u32 s7, s42, s4
	s_movk_i32 s4, 0x400
	v_add_co_u32_e32 v5, vcc, s4, v11
	v_addc_co_u32_e32 v6, vcc, 0, v12, vcc
	v_mov_b32_e32 v7, s39
	v_add_co_u32_e32 v11, vcc, s38, v5
	v_addc_co_u32_e32 v12, vcc, v7, v6, vcc
	v_mov_b32_e32 v7, s37
	;; [unrolled: 3-line block ×3, first 2 shown]
	v_add_co_u32_e32 v6, vcc, s40, v15
	v_addc_co_u32_e32 v5, vcc, v5, v16, vcc
	s_movk_i32 s4, 0x1008
	v_add_co_u32_e32 v15, vcc, s4, v6
	v_addc_co_u32_e32 v16, vcc, 0, v5, vcc
	s_movk_i32 s4, 0x100
	v_add_co_u32_e32 v17, vcc, s4, v17
	s_subb_u32 s29, s43, s5
	v_add_u32_e32 v26, 0xffffff00, v19
	v_add_u32_e32 v27, 0xfffffc00, v20
	;; [unrolled: 1-line block ×4, first 2 shown]
	v_addc_co_u32_e64 v18, s[4:5], 0, 0, vcc
	s_add_i32 s33, s33, -1
	v_mov_b32_e32 v10, 0
	s_mov_b32 s37, 0
	s_branch .LBB32_41
.LBB32_40:                              ;   in Loop: Header=BB32_41 Depth=1
	s_or_b64 exec, exec, s[38:39]
	v_add_co_u32_e32 v11, vcc, 0x400, v11
	v_addc_co_u32_e32 v12, vcc, 0, v12, vcc
	v_add_co_u32_e32 v13, vcc, 0x400, v13
	v_addc_co_u32_e32 v14, vcc, 0, v14, vcc
	;; [unrolled: 2-line block ×3, first 2 shown]
	v_add_co_u32_e32 v17, vcc, 0x100, v17
	s_add_i32 s33, s33, -1
	s_cmp_eq_u32 s33, 0
	v_addc_co_u32_e32 v18, vcc, 0, v18, vcc
	s_cbranch_scc1 .LBB32_85
.LBB32_41:                              ; =>This Inner Loop Header: Depth=1
	v_cmp_gt_i64_e32 vcc, s[30:31], v[17:18]
	v_mov_b32_e32 v5, 0
	v_mov_b32_e32 v7, 0
	;; [unrolled: 1-line block ×4, first 2 shown]
	v_mov_b32_e32 v9, -1
	s_and_saveexec_b64 s[4:5], vcc
	s_cbranch_execz .LBB32_43
; %bb.42:                               ;   in Loop: Header=BB32_41 Depth=1
	global_load_dword v30, v[11:12], off glc slc
	global_load_dwordx4 v[5:8], v[15:16], off offset:-8 glc slc
	v_mov_b32_e32 v9, s29
	s_waitcnt vmcnt(1)
	v_ashrrev_i32_e32 v31, 31, v30
	v_lshlrev_b64 v[30:31], 4, v[30:31]
	v_add_co_u32_e32 v34, vcc, s7, v30
	v_addc_co_u32_e32 v35, vcc, v9, v31, vcc
	global_load_dwordx4 v[30:33], v[34:35], off
	global_load_dword v9, v[13:14], off glc slc
	s_waitcnt vmcnt(1)
	v_mul_f64 v[34:35], v[32:33], -v[7:8]
	v_mul_f64 v[32:33], v[5:6], v[32:33]
	s_waitcnt vmcnt(0)
	v_subrev_u32_e32 v9, s28, v9
	v_fma_f64 v[5:6], v[5:6], v[30:31], v[34:35]
	v_fma_f64 v[7:8], v[7:8], v[30:31], v[32:33]
.LBB32_43:                              ;   in Loop: Header=BB32_41 Depth=1
	s_or_b64 exec, exec, s[4:5]
	s_and_saveexec_b64 s[4:5], s[0:1]
	s_cbranch_execz .LBB32_50
; %bb.44:                               ;   in Loop: Header=BB32_41 Depth=1
	ds_read_b32 v30, v10 offset:5116
	s_waitcnt lgkmcnt(0)
	v_readfirstlane_b32 s36, v30
	v_cmp_ne_u32_e32 vcc, v9, v30
	s_and_saveexec_b64 s[38:39], vcc
	s_xor_b64 s[38:39], exec, s[38:39]
	s_cbranch_execz .LBB32_47
; %bb.45:                               ;   in Loop: Header=BB32_41 Depth=1
	s_cmp_lt_i32 s36, 0
	s_cbranch_scc1 .LBB32_47
; %bb.46:                               ;   in Loop: Header=BB32_41 Depth=1
	s_lshl_b64 s[40:41], s[36:37], 4
	s_add_u32 s40, s34, s40
	s_addc_u32 s41, s35, s41
	global_load_dwordx4 v[30:33], v10, s[40:41]
	ds_read_b128 v[34:37], v10 offset:4080
	s_waitcnt vmcnt(0) lgkmcnt(0)
	v_fma_f64 v[30:31], v[1:2], v[34:35], v[30:31]
	v_fma_f64 v[32:33], v[3:4], v[34:35], v[32:33]
	v_fma_f64 v[30:31], -v[3:4], v[36:37], v[30:31]
	v_fma_f64 v[32:33], v[1:2], v[36:37], v[32:33]
	global_store_dwordx4 v10, v[30:33], s[40:41]
.LBB32_47:                              ;   in Loop: Header=BB32_41 Depth=1
	s_andn2_saveexec_b64 s[38:39], s[38:39]
	s_cbranch_execz .LBB32_49
; %bb.48:                               ;   in Loop: Header=BB32_41 Depth=1
	ds_read_b128 v[30:33], v10 offset:4080
	s_waitcnt lgkmcnt(0)
	v_add_f64 v[5:6], v[5:6], v[30:31]
	v_add_f64 v[7:8], v[7:8], v[32:33]
.LBB32_49:                              ;   in Loop: Header=BB32_41 Depth=1
	s_or_b64 exec, exec, s[38:39]
.LBB32_50:                              ;   in Loop: Header=BB32_41 Depth=1
	s_or_b64 exec, exec, s[4:5]
	s_waitcnt vmcnt(0) lgkmcnt(0)
	s_barrier
	ds_write_b32 v19, v9
	ds_write_b128 v20, v[5:8]
	s_waitcnt lgkmcnt(0)
	s_barrier
	s_and_saveexec_b64 s[4:5], s[2:3]
	s_cbranch_execz .LBB32_54
; %bb.51:                               ;   in Loop: Header=BB32_41 Depth=1
	ds_read_b32 v30, v21
	s_waitcnt lgkmcnt(0)
	v_cmp_eq_u32_e32 vcc, v9, v30
	s_and_saveexec_b64 s[38:39], vcc
	s_cbranch_execz .LBB32_53
; %bb.52:                               ;   in Loop: Header=BB32_41 Depth=1
	v_add_u32_e32 v30, -16, v20
	ds_read_b128 v[30:33], v30
	s_waitcnt lgkmcnt(0)
	v_add_f64 v[5:6], v[5:6], v[30:31]
	v_add_f64 v[7:8], v[7:8], v[32:33]
.LBB32_53:                              ;   in Loop: Header=BB32_41 Depth=1
	s_or_b64 exec, exec, s[38:39]
.LBB32_54:                              ;   in Loop: Header=BB32_41 Depth=1
	s_or_b64 exec, exec, s[4:5]
	s_barrier
	ds_write_b128 v20, v[5:8]
	s_waitcnt lgkmcnt(0)
	s_barrier
	s_and_saveexec_b64 s[4:5], s[22:23]
	s_cbranch_execz .LBB32_58
; %bb.55:                               ;   in Loop: Header=BB32_41 Depth=1
	ds_read_b32 v30, v22
	s_waitcnt lgkmcnt(0)
	v_cmp_eq_u32_e32 vcc, v9, v30
	s_and_saveexec_b64 s[38:39], vcc
	s_cbranch_execz .LBB32_57
; %bb.56:                               ;   in Loop: Header=BB32_41 Depth=1
	v_subrev_u32_e32 v30, 32, v20
	ds_read_b128 v[30:33], v30
	s_waitcnt lgkmcnt(0)
	v_add_f64 v[5:6], v[5:6], v[30:31]
	v_add_f64 v[7:8], v[7:8], v[32:33]
.LBB32_57:                              ;   in Loop: Header=BB32_41 Depth=1
	s_or_b64 exec, exec, s[38:39]
.LBB32_58:                              ;   in Loop: Header=BB32_41 Depth=1
	s_or_b64 exec, exec, s[4:5]
	s_barrier
	ds_write_b128 v20, v[5:8]
	s_waitcnt lgkmcnt(0)
	s_barrier
	s_and_saveexec_b64 s[4:5], s[8:9]
	s_cbranch_execz .LBB32_62
; %bb.59:                               ;   in Loop: Header=BB32_41 Depth=1
	ds_read_b32 v30, v23
	s_waitcnt lgkmcnt(0)
	v_cmp_eq_u32_e32 vcc, v9, v30
	s_and_saveexec_b64 s[38:39], vcc
	s_cbranch_execz .LBB32_61
; %bb.60:                               ;   in Loop: Header=BB32_41 Depth=1
	v_subrev_u32_e32 v30, 64, v20
	ds_read_b128 v[30:33], v30
	s_waitcnt lgkmcnt(0)
	v_add_f64 v[5:6], v[5:6], v[30:31]
	v_add_f64 v[7:8], v[7:8], v[32:33]
.LBB32_61:                              ;   in Loop: Header=BB32_41 Depth=1
	s_or_b64 exec, exec, s[38:39]
.LBB32_62:                              ;   in Loop: Header=BB32_41 Depth=1
	s_or_b64 exec, exec, s[4:5]
	s_barrier
	ds_write_b128 v20, v[5:8]
	s_waitcnt lgkmcnt(0)
	s_barrier
	s_and_saveexec_b64 s[4:5], s[10:11]
	s_cbranch_execz .LBB32_66
; %bb.63:                               ;   in Loop: Header=BB32_41 Depth=1
	ds_read_b32 v30, v24
	s_waitcnt lgkmcnt(0)
	v_cmp_eq_u32_e32 vcc, v9, v30
	s_and_saveexec_b64 s[38:39], vcc
	s_cbranch_execz .LBB32_65
; %bb.64:                               ;   in Loop: Header=BB32_41 Depth=1
	v_add_u32_e32 v30, 0xffffff80, v20
	ds_read_b128 v[30:33], v30
	s_waitcnt lgkmcnt(0)
	v_add_f64 v[5:6], v[5:6], v[30:31]
	v_add_f64 v[7:8], v[7:8], v[32:33]
.LBB32_65:                              ;   in Loop: Header=BB32_41 Depth=1
	s_or_b64 exec, exec, s[38:39]
.LBB32_66:                              ;   in Loop: Header=BB32_41 Depth=1
	s_or_b64 exec, exec, s[4:5]
	s_barrier
	ds_write_b128 v20, v[5:8]
	s_waitcnt lgkmcnt(0)
	s_barrier
	s_and_saveexec_b64 s[4:5], s[12:13]
	s_cbranch_execz .LBB32_70
; %bb.67:                               ;   in Loop: Header=BB32_41 Depth=1
	ds_read_b32 v30, v25
	s_waitcnt lgkmcnt(0)
	v_cmp_eq_u32_e32 vcc, v9, v30
	s_and_saveexec_b64 s[38:39], vcc
	s_cbranch_execz .LBB32_69
; %bb.68:                               ;   in Loop: Header=BB32_41 Depth=1
	v_add_u32_e32 v30, 0xffffff00, v20
	ds_read_b128 v[30:33], v30
	s_waitcnt lgkmcnt(0)
	v_add_f64 v[5:6], v[5:6], v[30:31]
	v_add_f64 v[7:8], v[7:8], v[32:33]
.LBB32_69:                              ;   in Loop: Header=BB32_41 Depth=1
	s_or_b64 exec, exec, s[38:39]
.LBB32_70:                              ;   in Loop: Header=BB32_41 Depth=1
	s_or_b64 exec, exec, s[4:5]
	s_barrier
	ds_write_b128 v20, v[5:8]
	s_waitcnt lgkmcnt(0)
	s_barrier
	s_and_saveexec_b64 s[4:5], s[14:15]
	s_cbranch_execz .LBB32_74
; %bb.71:                               ;   in Loop: Header=BB32_41 Depth=1
	v_add_u32_e32 v30, 0xffffff80, v19
	ds_read_b32 v30, v30
	s_waitcnt lgkmcnt(0)
	v_cmp_eq_u32_e32 vcc, v9, v30
	s_and_saveexec_b64 s[38:39], vcc
	s_cbranch_execz .LBB32_73
; %bb.72:                               ;   in Loop: Header=BB32_41 Depth=1
	v_add_u32_e32 v30, 0xfffffe00, v20
	ds_read_b128 v[30:33], v30
	s_waitcnt lgkmcnt(0)
	v_add_f64 v[5:6], v[5:6], v[30:31]
	v_add_f64 v[7:8], v[7:8], v[32:33]
.LBB32_73:                              ;   in Loop: Header=BB32_41 Depth=1
	s_or_b64 exec, exec, s[38:39]
.LBB32_74:                              ;   in Loop: Header=BB32_41 Depth=1
	s_or_b64 exec, exec, s[4:5]
	s_barrier
	ds_write_b128 v20, v[5:8]
	s_waitcnt lgkmcnt(0)
	s_barrier
	s_and_saveexec_b64 s[4:5], s[16:17]
	s_cbranch_execz .LBB32_78
; %bb.75:                               ;   in Loop: Header=BB32_41 Depth=1
	ds_read_b32 v30, v26
	s_waitcnt lgkmcnt(0)
	v_cmp_eq_u32_e32 vcc, v9, v30
	s_and_saveexec_b64 s[38:39], vcc
	s_cbranch_execz .LBB32_77
; %bb.76:                               ;   in Loop: Header=BB32_41 Depth=1
	ds_read_b128 v[30:33], v27
	s_waitcnt lgkmcnt(0)
	v_add_f64 v[5:6], v[5:6], v[30:31]
	v_add_f64 v[7:8], v[7:8], v[32:33]
.LBB32_77:                              ;   in Loop: Header=BB32_41 Depth=1
	s_or_b64 exec, exec, s[38:39]
.LBB32_78:                              ;   in Loop: Header=BB32_41 Depth=1
	s_or_b64 exec, exec, s[4:5]
	s_barrier
	ds_write_b128 v20, v[5:8]
	s_waitcnt lgkmcnt(0)
	s_barrier
	s_and_saveexec_b64 s[4:5], s[18:19]
	s_cbranch_execz .LBB32_82
; %bb.79:                               ;   in Loop: Header=BB32_41 Depth=1
	ds_read_b32 v30, v28
	s_waitcnt lgkmcnt(0)
	v_cmp_eq_u32_e32 vcc, v9, v30
	s_and_saveexec_b64 s[38:39], vcc
	s_cbranch_execz .LBB32_81
; %bb.80:                               ;   in Loop: Header=BB32_41 Depth=1
	ds_read_b128 v[30:33], v29
	s_waitcnt lgkmcnt(0)
	v_add_f64 v[5:6], v[5:6], v[30:31]
	v_add_f64 v[7:8], v[7:8], v[32:33]
.LBB32_81:                              ;   in Loop: Header=BB32_41 Depth=1
	s_or_b64 exec, exec, s[38:39]
.LBB32_82:                              ;   in Loop: Header=BB32_41 Depth=1
	s_or_b64 exec, exec, s[4:5]
	s_barrier
	ds_write_b128 v20, v[5:8]
	s_waitcnt lgkmcnt(0)
	s_barrier
	s_and_saveexec_b64 s[38:39], s[20:21]
	s_cbranch_execz .LBB32_40
; %bb.83:                               ;   in Loop: Header=BB32_41 Depth=1
	ds_read_b32 v30, v19 offset:4
	v_cmp_lt_i32_e64 s[4:5], -1, v9
	s_waitcnt lgkmcnt(0)
	v_cmp_ne_u32_e32 vcc, v9, v30
	s_and_b64 s[4:5], s[4:5], vcc
	s_and_b64 exec, exec, s[4:5]
	s_cbranch_execz .LBB32_40
; %bb.84:                               ;   in Loop: Header=BB32_41 Depth=1
	v_lshlrev_b64 v[30:31], 4, v[9:10]
	v_mov_b32_e32 v32, s35
	v_add_co_u32_e32 v34, vcc, s34, v30
	v_addc_co_u32_e32 v35, vcc, v32, v31, vcc
	global_load_dwordx4 v[30:33], v[34:35], off
	s_waitcnt vmcnt(0)
	v_fma_f64 v[30:31], v[1:2], v[5:6], v[30:31]
	v_fma_f64 v[32:33], v[3:4], v[5:6], v[32:33]
	v_fma_f64 v[30:31], -v[3:4], v[7:8], v[30:31]
	v_fma_f64 v[32:33], v[1:2], v[7:8], v[32:33]
	global_store_dwordx4 v[34:35], v[30:33], off
	s_branch .LBB32_40
.LBB32_85:
	s_movk_i32 s0, 0xff
	v_cmp_eq_u32_e32 vcc, s0, v0
	s_and_b64 exec, exec, vcc
	s_cbranch_execz .LBB32_87
; %bb.86:
	v_mul_f64 v[10:11], v[7:8], -v[3:4]
	v_mul_f64 v[7:8], v[1:2], v[7:8]
	s_mov_b32 s7, 0
	s_lshl_b64 s[0:1], s[6:7], 2
	s_waitcnt lgkmcnt(0)
	s_add_u32 s0, s24, s0
	s_addc_u32 s1, s25, s1
	v_fma_f64 v[0:1], v[1:2], v[5:6], v[10:11]
	v_fma_f64 v[2:3], v[3:4], v[5:6], v[7:8]
	v_mov_b32_e32 v4, 0
	global_store_dword v4, v9, s[0:1] glc slc
	s_lshl_b64 s[0:1], s[6:7], 4
	s_add_u32 s0, s26, s0
	s_addc_u32 s1, s27, s1
	global_store_dwordx4 v4, v[0:3], s[0:1] glc slc
.LBB32_87:
	s_endpgm
	.section	.rodata,"a",@progbits
	.p2align	6, 0x0
	.amdhsa_kernel _ZN9rocsparseL22coomvn_segmented_loopsILj256Ei21rocsparse_complex_numIdES2_S2_S2_EEvlT0_NS_24const_host_device_scalarIT4_EEPKS3_S8_PKT1_PKT2_PT3_PS3_PS5_21rocsparse_index_base_b
		.amdhsa_group_segment_fixed_size 5120
		.amdhsa_private_segment_fixed_size 0
		.amdhsa_kernarg_size 96
		.amdhsa_user_sgpr_count 6
		.amdhsa_user_sgpr_private_segment_buffer 1
		.amdhsa_user_sgpr_dispatch_ptr 0
		.amdhsa_user_sgpr_queue_ptr 0
		.amdhsa_user_sgpr_kernarg_segment_ptr 1
		.amdhsa_user_sgpr_dispatch_id 0
		.amdhsa_user_sgpr_flat_scratch_init 0
		.amdhsa_user_sgpr_private_segment_size 0
		.amdhsa_uses_dynamic_stack 0
		.amdhsa_system_sgpr_private_segment_wavefront_offset 0
		.amdhsa_system_sgpr_workgroup_id_x 1
		.amdhsa_system_sgpr_workgroup_id_y 0
		.amdhsa_system_sgpr_workgroup_id_z 0
		.amdhsa_system_sgpr_workgroup_info 0
		.amdhsa_system_vgpr_workitem_id 0
		.amdhsa_next_free_vgpr 38
		.amdhsa_next_free_sgpr 44
		.amdhsa_reserve_vcc 1
		.amdhsa_reserve_flat_scratch 0
		.amdhsa_float_round_mode_32 0
		.amdhsa_float_round_mode_16_64 0
		.amdhsa_float_denorm_mode_32 3
		.amdhsa_float_denorm_mode_16_64 3
		.amdhsa_dx10_clamp 1
		.amdhsa_ieee_mode 1
		.amdhsa_fp16_overflow 0
		.amdhsa_exception_fp_ieee_invalid_op 0
		.amdhsa_exception_fp_denorm_src 0
		.amdhsa_exception_fp_ieee_div_zero 0
		.amdhsa_exception_fp_ieee_overflow 0
		.amdhsa_exception_fp_ieee_underflow 0
		.amdhsa_exception_fp_ieee_inexact 0
		.amdhsa_exception_int_div_zero 0
	.end_amdhsa_kernel
	.section	.text._ZN9rocsparseL22coomvn_segmented_loopsILj256Ei21rocsparse_complex_numIdES2_S2_S2_EEvlT0_NS_24const_host_device_scalarIT4_EEPKS3_S8_PKT1_PKT2_PT3_PS3_PS5_21rocsparse_index_base_b,"axG",@progbits,_ZN9rocsparseL22coomvn_segmented_loopsILj256Ei21rocsparse_complex_numIdES2_S2_S2_EEvlT0_NS_24const_host_device_scalarIT4_EEPKS3_S8_PKT1_PKT2_PT3_PS3_PS5_21rocsparse_index_base_b,comdat
.Lfunc_end32:
	.size	_ZN9rocsparseL22coomvn_segmented_loopsILj256Ei21rocsparse_complex_numIdES2_S2_S2_EEvlT0_NS_24const_host_device_scalarIT4_EEPKS3_S8_PKT1_PKT2_PT3_PS3_PS5_21rocsparse_index_base_b, .Lfunc_end32-_ZN9rocsparseL22coomvn_segmented_loopsILj256Ei21rocsparse_complex_numIdES2_S2_S2_EEvlT0_NS_24const_host_device_scalarIT4_EEPKS3_S8_PKT1_PKT2_PT3_PS3_PS5_21rocsparse_index_base_b
                                        ; -- End function
	.set _ZN9rocsparseL22coomvn_segmented_loopsILj256Ei21rocsparse_complex_numIdES2_S2_S2_EEvlT0_NS_24const_host_device_scalarIT4_EEPKS3_S8_PKT1_PKT2_PT3_PS3_PS5_21rocsparse_index_base_b.num_vgpr, 38
	.set _ZN9rocsparseL22coomvn_segmented_loopsILj256Ei21rocsparse_complex_numIdES2_S2_S2_EEvlT0_NS_24const_host_device_scalarIT4_EEPKS3_S8_PKT1_PKT2_PT3_PS3_PS5_21rocsparse_index_base_b.num_agpr, 0
	.set _ZN9rocsparseL22coomvn_segmented_loopsILj256Ei21rocsparse_complex_numIdES2_S2_S2_EEvlT0_NS_24const_host_device_scalarIT4_EEPKS3_S8_PKT1_PKT2_PT3_PS3_PS5_21rocsparse_index_base_b.numbered_sgpr, 44
	.set _ZN9rocsparseL22coomvn_segmented_loopsILj256Ei21rocsparse_complex_numIdES2_S2_S2_EEvlT0_NS_24const_host_device_scalarIT4_EEPKS3_S8_PKT1_PKT2_PT3_PS3_PS5_21rocsparse_index_base_b.num_named_barrier, 0
	.set _ZN9rocsparseL22coomvn_segmented_loopsILj256Ei21rocsparse_complex_numIdES2_S2_S2_EEvlT0_NS_24const_host_device_scalarIT4_EEPKS3_S8_PKT1_PKT2_PT3_PS3_PS5_21rocsparse_index_base_b.private_seg_size, 0
	.set _ZN9rocsparseL22coomvn_segmented_loopsILj256Ei21rocsparse_complex_numIdES2_S2_S2_EEvlT0_NS_24const_host_device_scalarIT4_EEPKS3_S8_PKT1_PKT2_PT3_PS3_PS5_21rocsparse_index_base_b.uses_vcc, 1
	.set _ZN9rocsparseL22coomvn_segmented_loopsILj256Ei21rocsparse_complex_numIdES2_S2_S2_EEvlT0_NS_24const_host_device_scalarIT4_EEPKS3_S8_PKT1_PKT2_PT3_PS3_PS5_21rocsparse_index_base_b.uses_flat_scratch, 0
	.set _ZN9rocsparseL22coomvn_segmented_loopsILj256Ei21rocsparse_complex_numIdES2_S2_S2_EEvlT0_NS_24const_host_device_scalarIT4_EEPKS3_S8_PKT1_PKT2_PT3_PS3_PS5_21rocsparse_index_base_b.has_dyn_sized_stack, 0
	.set _ZN9rocsparseL22coomvn_segmented_loopsILj256Ei21rocsparse_complex_numIdES2_S2_S2_EEvlT0_NS_24const_host_device_scalarIT4_EEPKS3_S8_PKT1_PKT2_PT3_PS3_PS5_21rocsparse_index_base_b.has_recursion, 0
	.set _ZN9rocsparseL22coomvn_segmented_loopsILj256Ei21rocsparse_complex_numIdES2_S2_S2_EEvlT0_NS_24const_host_device_scalarIT4_EEPKS3_S8_PKT1_PKT2_PT3_PS3_PS5_21rocsparse_index_base_b.has_indirect_call, 0
	.section	.AMDGPU.csdata,"",@progbits
; Kernel info:
; codeLenInByte = 2932
; TotalNumSgprs: 48
; NumVgprs: 38
; ScratchSize: 0
; MemoryBound: 1
; FloatMode: 240
; IeeeMode: 1
; LDSByteSize: 5120 bytes/workgroup (compile time only)
; SGPRBlocks: 5
; VGPRBlocks: 9
; NumSGPRsForWavesPerEU: 48
; NumVGPRsForWavesPerEU: 38
; Occupancy: 6
; WaveLimiterHint : 1
; COMPUTE_PGM_RSRC2:SCRATCH_EN: 0
; COMPUTE_PGM_RSRC2:USER_SGPR: 6
; COMPUTE_PGM_RSRC2:TRAP_HANDLER: 0
; COMPUTE_PGM_RSRC2:TGID_X_EN: 1
; COMPUTE_PGM_RSRC2:TGID_Y_EN: 0
; COMPUTE_PGM_RSRC2:TGID_Z_EN: 0
; COMPUTE_PGM_RSRC2:TIDIG_COMP_CNT: 0
	.section	.text._ZN9rocsparseL29coomvn_segmented_loops_reduceILj256Ei21rocsparse_complex_numIdES2_EEvT0_NS_24const_host_device_scalarIT2_EEPKS3_PKS5_PT1_b,"axG",@progbits,_ZN9rocsparseL29coomvn_segmented_loops_reduceILj256Ei21rocsparse_complex_numIdES2_EEvT0_NS_24const_host_device_scalarIT2_EEPKS3_PKS5_PT1_b,comdat
	.globl	_ZN9rocsparseL29coomvn_segmented_loops_reduceILj256Ei21rocsparse_complex_numIdES2_EEvT0_NS_24const_host_device_scalarIT2_EEPKS3_PKS5_PT1_b ; -- Begin function _ZN9rocsparseL29coomvn_segmented_loops_reduceILj256Ei21rocsparse_complex_numIdES2_EEvT0_NS_24const_host_device_scalarIT2_EEPKS3_PKS5_PT1_b
	.p2align	8
	.type	_ZN9rocsparseL29coomvn_segmented_loops_reduceILj256Ei21rocsparse_complex_numIdES2_EEvT0_NS_24const_host_device_scalarIT2_EEPKS3_PKS5_PT1_b,@function
_ZN9rocsparseL29coomvn_segmented_loops_reduceILj256Ei21rocsparse_complex_numIdES2_EEvT0_NS_24const_host_device_scalarIT2_EEPKS3_PKS5_PT1_b: ; @_ZN9rocsparseL29coomvn_segmented_loops_reduceILj256Ei21rocsparse_complex_numIdES2_EEvT0_NS_24const_host_device_scalarIT2_EEPKS3_PKS5_PT1_b
; %bb.0:
	s_load_dword s2, s[4:5], 0x30
	s_load_dwordx2 s[0:1], s[4:5], 0x8
	s_add_u32 s3, s4, 8
	s_addc_u32 s6, s5, 0
	s_waitcnt lgkmcnt(0)
	s_bitcmp1_b32 s2, 0
	s_cselect_b32 s1, s6, s1
	s_cselect_b32 s0, s3, s0
	v_mov_b32_e32 v1, s0
	v_mov_b32_e32 v2, s1
	flat_load_dwordx4 v[1:4], v[1:2]
	s_waitcnt vmcnt(0) lgkmcnt(0)
	v_cmp_neq_f64_e32 vcc, 0, v[1:2]
	v_cmp_neq_f64_e64 s[0:1], 0, v[3:4]
	s_or_b64 s[0:1], vcc, s[0:1]
	s_and_saveexec_b64 s[2:3], s[0:1]
	s_cbranch_execz .LBB33_42
; %bb.1:
	s_load_dword s28, s[4:5], 0x0
	s_waitcnt lgkmcnt(0)
	s_cmp_lt_i32 s28, 1
	s_cbranch_scc1 .LBB33_42
; %bb.2:
	v_mov_b32_e32 v1, 0x1000
	v_subrev_co_u32_e32 v2, vcc, 1, v0
	s_load_dwordx4 s[8:11], s[4:5], 0x18
	s_load_dwordx2 s[6:7], s[4:5], 0x28
	s_xor_b64 s[4:5], vcc, -1
	v_lshl_add_u32 v12, v2, 2, v1
	v_subrev_co_u32_e32 v2, vcc, 2, v0
	s_xor_b64 s[12:13], vcc, -1
	v_lshl_add_u32 v13, v2, 2, v1
	v_subrev_co_u32_e32 v2, vcc, 4, v0
	;; [unrolled: 3-line block ×6, first 2 shown]
	s_movk_i32 s0, 0x80
	v_lshlrev_b32_e32 v11, 4, v0
	s_xor_b64 s[22:23], vcc, -1
	v_lshl_add_u32 v20, v2, 2, v1
	v_subrev_co_u32_e32 v2, vcc, s0, v0
	s_movk_i32 s0, 0xff
	v_lshl_or_b32 v10, v0, 2, v1
	v_add_u32_e32 v17, 0xffffff00, v11
	v_add_u32_e32 v19, 0xfffffe00, v11
	;; [unrolled: 1-line block ×3, first 2 shown]
	s_xor_b64 s[24:25], vcc, -1
	v_lshl_add_u32 v22, v2, 2, v1
	v_add_u32_e32 v23, 0xfffff800, v11
	v_cmp_gt_u32_e32 vcc, s0, v0
	s_mov_b32 s29, 0
	v_mov_b32_e32 v9, 0
	s_branch .LBB33_4
.LBB33_3:                               ;   in Loop: Header=BB33_4 Depth=1
	s_or_b64 exec, exec, s[2:3]
	s_addk_i32 s29, 0x100
	s_cmp_lt_i32 s29, s28
	s_waitcnt vmcnt(0)
	s_barrier
	s_cbranch_scc0 .LBB33_42
.LBB33_4:                               ; =>This Inner Loop Header: Depth=1
	v_add_u32_e32 v1, s29, v0
	v_mov_b32_e32 v3, 0
	v_mov_b32_e32 v7, 0
	;; [unrolled: 1-line block ×3, first 2 shown]
	v_cmp_gt_i32_e64 s[0:1], s28, v1
	v_mov_b32_e32 v4, 0
	v_mov_b32_e32 v8, 0
	;; [unrolled: 1-line block ×3, first 2 shown]
	v_mov_b32_e32 v2, -1
	s_and_saveexec_b64 s[2:3], s[0:1]
	s_cbranch_execz .LBB33_6
; %bb.5:                                ;   in Loop: Header=BB33_4 Depth=1
	v_ashrrev_i32_e32 v2, 31, v1
	v_lshlrev_b64 v[5:6], 4, v[1:2]
	s_waitcnt lgkmcnt(0)
	v_mov_b32_e32 v7, s11
	v_add_co_u32_e64 v24, s[0:1], s10, v5
	v_lshlrev_b64 v[1:2], 2, v[1:2]
	v_addc_co_u32_e64 v25, s[0:1], v7, v6, s[0:1]
	v_mov_b32_e32 v5, s9
	v_add_co_u32_e64 v26, s[0:1], s8, v1
	v_addc_co_u32_e64 v27, s[0:1], v5, v2, s[0:1]
	global_load_dword v2, v[26:27], off
	global_load_dwordx4 v[5:8], v[24:25], off
.LBB33_6:                               ;   in Loop: Header=BB33_4 Depth=1
	s_or_b64 exec, exec, s[2:3]
	s_waitcnt vmcnt(1)
	ds_write_b32 v10, v2
	s_waitcnt vmcnt(0)
	ds_write_b128 v11, v[5:8]
	v_mov_b32_e32 v1, 0
	v_mov_b32_e32 v2, 0
	s_waitcnt lgkmcnt(0)
	s_barrier
	s_and_saveexec_b64 s[2:3], s[4:5]
	s_cbranch_execz .LBB33_10
; %bb.7:                                ;   in Loop: Header=BB33_4 Depth=1
	ds_read2_b32 v[5:6], v12 offset1:1
	v_mov_b32_e32 v1, 0
	v_mov_b32_e32 v3, 0
	;; [unrolled: 1-line block ×4, first 2 shown]
	s_waitcnt lgkmcnt(0)
	v_cmp_eq_u32_e64 s[0:1], v6, v5
	s_and_saveexec_b64 s[26:27], s[0:1]
; %bb.8:                                ;   in Loop: Header=BB33_4 Depth=1
	v_add_u32_e32 v1, -16, v11
	ds_read_b128 v[1:4], v1
; %bb.9:                                ;   in Loop: Header=BB33_4 Depth=1
	s_or_b64 exec, exec, s[26:27]
.LBB33_10:                              ;   in Loop: Header=BB33_4 Depth=1
	s_or_b64 exec, exec, s[2:3]
	s_waitcnt lgkmcnt(0)
	s_barrier
	ds_read_b128 v[5:8], v11
	s_waitcnt lgkmcnt(0)
	v_add_f64 v[24:25], v[1:2], v[5:6]
	v_add_f64 v[26:27], v[3:4], v[7:8]
	v_mov_b32_e32 v3, 0
	v_mov_b32_e32 v7, 0
	;; [unrolled: 1-line block ×6, first 2 shown]
	ds_write_b128 v11, v[24:27]
	s_waitcnt lgkmcnt(0)
	s_barrier
	s_and_saveexec_b64 s[2:3], s[12:13]
	s_cbranch_execz .LBB33_14
; %bb.11:                               ;   in Loop: Header=BB33_4 Depth=1
	ds_read_b32 v1, v10
	ds_read_b32 v2, v13
	v_mov_b32_e32 v5, 0
	v_mov_b32_e32 v7, 0
	;; [unrolled: 1-line block ×4, first 2 shown]
	s_waitcnt lgkmcnt(0)
	v_cmp_eq_u32_e64 s[0:1], v1, v2
	s_and_saveexec_b64 s[26:27], s[0:1]
; %bb.12:                               ;   in Loop: Header=BB33_4 Depth=1
	v_subrev_u32_e32 v1, 32, v11
	ds_read_b128 v[5:8], v1
; %bb.13:                               ;   in Loop: Header=BB33_4 Depth=1
	s_or_b64 exec, exec, s[26:27]
.LBB33_14:                              ;   in Loop: Header=BB33_4 Depth=1
	s_or_b64 exec, exec, s[2:3]
	s_waitcnt lgkmcnt(0)
	s_barrier
	ds_read_b128 v[24:27], v11
	v_mov_b32_e32 v1, 0
	v_mov_b32_e32 v2, 0
	s_waitcnt lgkmcnt(0)
	v_add_f64 v[5:6], v[5:6], v[24:25]
	v_add_f64 v[7:8], v[7:8], v[26:27]
	ds_write_b128 v11, v[5:8]
	s_waitcnt lgkmcnt(0)
	s_barrier
	s_and_saveexec_b64 s[2:3], s[14:15]
	s_cbranch_execz .LBB33_18
; %bb.15:                               ;   in Loop: Header=BB33_4 Depth=1
	ds_read_b32 v5, v10
	ds_read_b32 v6, v14
	v_mov_b32_e32 v1, 0
	v_mov_b32_e32 v3, 0
	;; [unrolled: 1-line block ×4, first 2 shown]
	s_waitcnt lgkmcnt(0)
	v_cmp_eq_u32_e64 s[0:1], v5, v6
	s_and_saveexec_b64 s[26:27], s[0:1]
; %bb.16:                               ;   in Loop: Header=BB33_4 Depth=1
	v_subrev_u32_e32 v1, 64, v11
	ds_read_b128 v[1:4], v1
; %bb.17:                               ;   in Loop: Header=BB33_4 Depth=1
	s_or_b64 exec, exec, s[26:27]
.LBB33_18:                              ;   in Loop: Header=BB33_4 Depth=1
	s_or_b64 exec, exec, s[2:3]
	s_waitcnt lgkmcnt(0)
	s_barrier
	ds_read_b128 v[5:8], v11
	s_waitcnt lgkmcnt(0)
	v_add_f64 v[24:25], v[1:2], v[5:6]
	v_add_f64 v[26:27], v[3:4], v[7:8]
	v_mov_b32_e32 v3, 0
	v_mov_b32_e32 v7, 0
	;; [unrolled: 1-line block ×6, first 2 shown]
	ds_write_b128 v11, v[24:27]
	s_waitcnt lgkmcnt(0)
	s_barrier
	s_and_saveexec_b64 s[2:3], s[16:17]
	s_cbranch_execz .LBB33_22
; %bb.19:                               ;   in Loop: Header=BB33_4 Depth=1
	ds_read_b32 v1, v10
	ds_read_b32 v2, v15
	v_mov_b32_e32 v5, 0
	v_mov_b32_e32 v7, 0
	;; [unrolled: 1-line block ×4, first 2 shown]
	s_waitcnt lgkmcnt(0)
	v_cmp_eq_u32_e64 s[0:1], v1, v2
	s_and_saveexec_b64 s[26:27], s[0:1]
; %bb.20:                               ;   in Loop: Header=BB33_4 Depth=1
	v_add_u32_e32 v1, 0xffffff80, v11
	ds_read_b128 v[5:8], v1
; %bb.21:                               ;   in Loop: Header=BB33_4 Depth=1
	s_or_b64 exec, exec, s[26:27]
.LBB33_22:                              ;   in Loop: Header=BB33_4 Depth=1
	s_or_b64 exec, exec, s[2:3]
	s_waitcnt lgkmcnt(0)
	s_barrier
	ds_read_b128 v[24:27], v11
	v_mov_b32_e32 v1, 0
	v_mov_b32_e32 v2, 0
	s_waitcnt lgkmcnt(0)
	v_add_f64 v[5:6], v[5:6], v[24:25]
	v_add_f64 v[7:8], v[7:8], v[26:27]
	ds_write_b128 v11, v[5:8]
	s_waitcnt lgkmcnt(0)
	s_barrier
	s_and_saveexec_b64 s[2:3], s[18:19]
	s_cbranch_execz .LBB33_26
; %bb.23:                               ;   in Loop: Header=BB33_4 Depth=1
	ds_read_b32 v5, v10
	ds_read_b32 v6, v16
	v_mov_b32_e32 v1, 0
	v_mov_b32_e32 v3, 0
	;; [unrolled: 1-line block ×4, first 2 shown]
	s_waitcnt lgkmcnt(0)
	v_cmp_eq_u32_e64 s[0:1], v5, v6
	s_and_saveexec_b64 s[26:27], s[0:1]
; %bb.24:                               ;   in Loop: Header=BB33_4 Depth=1
	ds_read_b128 v[1:4], v17
; %bb.25:                               ;   in Loop: Header=BB33_4 Depth=1
	s_or_b64 exec, exec, s[26:27]
.LBB33_26:                              ;   in Loop: Header=BB33_4 Depth=1
	s_or_b64 exec, exec, s[2:3]
	s_waitcnt lgkmcnt(0)
	s_barrier
	ds_read_b128 v[5:8], v11
	s_waitcnt lgkmcnt(0)
	v_add_f64 v[24:25], v[1:2], v[5:6]
	v_add_f64 v[26:27], v[3:4], v[7:8]
	v_mov_b32_e32 v3, 0
	v_mov_b32_e32 v7, 0
	;; [unrolled: 1-line block ×6, first 2 shown]
	ds_write_b128 v11, v[24:27]
	s_waitcnt lgkmcnt(0)
	s_barrier
	s_and_saveexec_b64 s[2:3], s[20:21]
	s_cbranch_execz .LBB33_30
; %bb.27:                               ;   in Loop: Header=BB33_4 Depth=1
	ds_read_b32 v1, v10
	ds_read_b32 v2, v18
	v_mov_b32_e32 v5, 0
	v_mov_b32_e32 v7, 0
	;; [unrolled: 1-line block ×4, first 2 shown]
	s_waitcnt lgkmcnt(0)
	v_cmp_eq_u32_e64 s[0:1], v1, v2
	s_and_saveexec_b64 s[26:27], s[0:1]
; %bb.28:                               ;   in Loop: Header=BB33_4 Depth=1
	ds_read_b128 v[5:8], v19
; %bb.29:                               ;   in Loop: Header=BB33_4 Depth=1
	s_or_b64 exec, exec, s[26:27]
.LBB33_30:                              ;   in Loop: Header=BB33_4 Depth=1
	s_or_b64 exec, exec, s[2:3]
	s_waitcnt lgkmcnt(0)
	s_barrier
	ds_read_b128 v[24:27], v11
	v_mov_b32_e32 v1, 0
	v_mov_b32_e32 v2, 0
	s_waitcnt lgkmcnt(0)
	v_add_f64 v[5:6], v[5:6], v[24:25]
	v_add_f64 v[7:8], v[7:8], v[26:27]
	ds_write_b128 v11, v[5:8]
	s_waitcnt lgkmcnt(0)
	s_barrier
	s_and_saveexec_b64 s[2:3], s[22:23]
	s_cbranch_execz .LBB33_34
; %bb.31:                               ;   in Loop: Header=BB33_4 Depth=1
	ds_read_b32 v5, v10
	ds_read_b32 v6, v20
	v_mov_b32_e32 v1, 0
	v_mov_b32_e32 v3, 0
	;; [unrolled: 1-line block ×4, first 2 shown]
	s_waitcnt lgkmcnt(0)
	v_cmp_eq_u32_e64 s[0:1], v5, v6
	s_and_saveexec_b64 s[26:27], s[0:1]
; %bb.32:                               ;   in Loop: Header=BB33_4 Depth=1
	ds_read_b128 v[1:4], v21
; %bb.33:                               ;   in Loop: Header=BB33_4 Depth=1
	s_or_b64 exec, exec, s[26:27]
.LBB33_34:                              ;   in Loop: Header=BB33_4 Depth=1
	s_or_b64 exec, exec, s[2:3]
	s_waitcnt lgkmcnt(0)
	s_barrier
	ds_read_b128 v[5:8], v11
	s_waitcnt lgkmcnt(0)
	v_add_f64 v[5:6], v[1:2], v[5:6]
	v_add_f64 v[7:8], v[3:4], v[7:8]
	v_mov_b32_e32 v3, 0
	v_mov_b32_e32 v1, 0
	;; [unrolled: 1-line block ×4, first 2 shown]
	ds_write_b128 v11, v[5:8]
	s_waitcnt lgkmcnt(0)
	s_barrier
	s_and_saveexec_b64 s[2:3], s[24:25]
	s_cbranch_execz .LBB33_38
; %bb.35:                               ;   in Loop: Header=BB33_4 Depth=1
	ds_read_b32 v5, v10
	ds_read_b32 v6, v22
	v_mov_b32_e32 v1, 0
	v_mov_b32_e32 v3, 0
	v_mov_b32_e32 v2, 0
	v_mov_b32_e32 v4, 0
	s_waitcnt lgkmcnt(0)
	v_cmp_eq_u32_e64 s[0:1], v5, v6
	s_and_saveexec_b64 s[26:27], s[0:1]
; %bb.36:                               ;   in Loop: Header=BB33_4 Depth=1
	ds_read_b128 v[1:4], v23
; %bb.37:                               ;   in Loop: Header=BB33_4 Depth=1
	s_or_b64 exec, exec, s[26:27]
.LBB33_38:                              ;   in Loop: Header=BB33_4 Depth=1
	s_or_b64 exec, exec, s[2:3]
	s_waitcnt lgkmcnt(0)
	s_barrier
	ds_read_b128 v[5:8], v11
	s_waitcnt lgkmcnt(0)
	v_add_f64 v[1:2], v[1:2], v[5:6]
	v_add_f64 v[3:4], v[3:4], v[7:8]
	ds_write_b128 v11, v[1:4]
	s_waitcnt lgkmcnt(0)
	s_barrier
	ds_read_b32 v8, v10
	v_mov_b32_e32 v1, -1
	s_and_saveexec_b64 s[0:1], vcc
; %bb.39:                               ;   in Loop: Header=BB33_4 Depth=1
	ds_read_b32 v1, v10 offset:4
; %bb.40:                               ;   in Loop: Header=BB33_4 Depth=1
	s_or_b64 exec, exec, s[0:1]
	s_waitcnt lgkmcnt(0)
	v_cmp_ne_u32_e64 s[0:1], v8, v1
	v_cmp_lt_i32_e64 s[2:3], -1, v8
	s_and_b64 s[0:1], s[2:3], s[0:1]
	s_and_saveexec_b64 s[2:3], s[0:1]
	s_cbranch_execz .LBB33_3
; %bb.41:                               ;   in Loop: Header=BB33_4 Depth=1
	v_lshlrev_b64 v[1:2], 4, v[8:9]
	v_mov_b32_e32 v3, s7
	v_add_co_u32_e64 v24, s[0:1], s6, v1
	v_addc_co_u32_e64 v25, s[0:1], v3, v2, s[0:1]
	global_load_dwordx4 v[1:4], v[24:25], off
	ds_read_b128 v[5:8], v11
	s_waitcnt vmcnt(0) lgkmcnt(0)
	v_add_f64 v[1:2], v[5:6], v[1:2]
	v_add_f64 v[3:4], v[7:8], v[3:4]
	global_store_dwordx4 v[24:25], v[1:4], off
	s_branch .LBB33_3
.LBB33_42:
	s_endpgm
	.section	.rodata,"a",@progbits
	.p2align	6, 0x0
	.amdhsa_kernel _ZN9rocsparseL29coomvn_segmented_loops_reduceILj256Ei21rocsparse_complex_numIdES2_EEvT0_NS_24const_host_device_scalarIT2_EEPKS3_PKS5_PT1_b
		.amdhsa_group_segment_fixed_size 5120
		.amdhsa_private_segment_fixed_size 0
		.amdhsa_kernarg_size 52
		.amdhsa_user_sgpr_count 6
		.amdhsa_user_sgpr_private_segment_buffer 1
		.amdhsa_user_sgpr_dispatch_ptr 0
		.amdhsa_user_sgpr_queue_ptr 0
		.amdhsa_user_sgpr_kernarg_segment_ptr 1
		.amdhsa_user_sgpr_dispatch_id 0
		.amdhsa_user_sgpr_flat_scratch_init 0
		.amdhsa_user_sgpr_private_segment_size 0
		.amdhsa_uses_dynamic_stack 0
		.amdhsa_system_sgpr_private_segment_wavefront_offset 0
		.amdhsa_system_sgpr_workgroup_id_x 1
		.amdhsa_system_sgpr_workgroup_id_y 0
		.amdhsa_system_sgpr_workgroup_id_z 0
		.amdhsa_system_sgpr_workgroup_info 0
		.amdhsa_system_vgpr_workitem_id 0
		.amdhsa_next_free_vgpr 28
		.amdhsa_next_free_sgpr 30
		.amdhsa_reserve_vcc 1
		.amdhsa_reserve_flat_scratch 0
		.amdhsa_float_round_mode_32 0
		.amdhsa_float_round_mode_16_64 0
		.amdhsa_float_denorm_mode_32 3
		.amdhsa_float_denorm_mode_16_64 3
		.amdhsa_dx10_clamp 1
		.amdhsa_ieee_mode 1
		.amdhsa_fp16_overflow 0
		.amdhsa_exception_fp_ieee_invalid_op 0
		.amdhsa_exception_fp_denorm_src 0
		.amdhsa_exception_fp_ieee_div_zero 0
		.amdhsa_exception_fp_ieee_overflow 0
		.amdhsa_exception_fp_ieee_underflow 0
		.amdhsa_exception_fp_ieee_inexact 0
		.amdhsa_exception_int_div_zero 0
	.end_amdhsa_kernel
	.section	.text._ZN9rocsparseL29coomvn_segmented_loops_reduceILj256Ei21rocsparse_complex_numIdES2_EEvT0_NS_24const_host_device_scalarIT2_EEPKS3_PKS5_PT1_b,"axG",@progbits,_ZN9rocsparseL29coomvn_segmented_loops_reduceILj256Ei21rocsparse_complex_numIdES2_EEvT0_NS_24const_host_device_scalarIT2_EEPKS3_PKS5_PT1_b,comdat
.Lfunc_end33:
	.size	_ZN9rocsparseL29coomvn_segmented_loops_reduceILj256Ei21rocsparse_complex_numIdES2_EEvT0_NS_24const_host_device_scalarIT2_EEPKS3_PKS5_PT1_b, .Lfunc_end33-_ZN9rocsparseL29coomvn_segmented_loops_reduceILj256Ei21rocsparse_complex_numIdES2_EEvT0_NS_24const_host_device_scalarIT2_EEPKS3_PKS5_PT1_b
                                        ; -- End function
	.set _ZN9rocsparseL29coomvn_segmented_loops_reduceILj256Ei21rocsparse_complex_numIdES2_EEvT0_NS_24const_host_device_scalarIT2_EEPKS3_PKS5_PT1_b.num_vgpr, 28
	.set _ZN9rocsparseL29coomvn_segmented_loops_reduceILj256Ei21rocsparse_complex_numIdES2_EEvT0_NS_24const_host_device_scalarIT2_EEPKS3_PKS5_PT1_b.num_agpr, 0
	.set _ZN9rocsparseL29coomvn_segmented_loops_reduceILj256Ei21rocsparse_complex_numIdES2_EEvT0_NS_24const_host_device_scalarIT2_EEPKS3_PKS5_PT1_b.numbered_sgpr, 30
	.set _ZN9rocsparseL29coomvn_segmented_loops_reduceILj256Ei21rocsparse_complex_numIdES2_EEvT0_NS_24const_host_device_scalarIT2_EEPKS3_PKS5_PT1_b.num_named_barrier, 0
	.set _ZN9rocsparseL29coomvn_segmented_loops_reduceILj256Ei21rocsparse_complex_numIdES2_EEvT0_NS_24const_host_device_scalarIT2_EEPKS3_PKS5_PT1_b.private_seg_size, 0
	.set _ZN9rocsparseL29coomvn_segmented_loops_reduceILj256Ei21rocsparse_complex_numIdES2_EEvT0_NS_24const_host_device_scalarIT2_EEPKS3_PKS5_PT1_b.uses_vcc, 1
	.set _ZN9rocsparseL29coomvn_segmented_loops_reduceILj256Ei21rocsparse_complex_numIdES2_EEvT0_NS_24const_host_device_scalarIT2_EEPKS3_PKS5_PT1_b.uses_flat_scratch, 0
	.set _ZN9rocsparseL29coomvn_segmented_loops_reduceILj256Ei21rocsparse_complex_numIdES2_EEvT0_NS_24const_host_device_scalarIT2_EEPKS3_PKS5_PT1_b.has_dyn_sized_stack, 0
	.set _ZN9rocsparseL29coomvn_segmented_loops_reduceILj256Ei21rocsparse_complex_numIdES2_EEvT0_NS_24const_host_device_scalarIT2_EEPKS3_PKS5_PT1_b.has_recursion, 0
	.set _ZN9rocsparseL29coomvn_segmented_loops_reduceILj256Ei21rocsparse_complex_numIdES2_EEvT0_NS_24const_host_device_scalarIT2_EEPKS3_PKS5_PT1_b.has_indirect_call, 0
	.section	.AMDGPU.csdata,"",@progbits
; Kernel info:
; codeLenInByte = 1776
; TotalNumSgprs: 34
; NumVgprs: 28
; ScratchSize: 0
; MemoryBound: 0
; FloatMode: 240
; IeeeMode: 1
; LDSByteSize: 5120 bytes/workgroup (compile time only)
; SGPRBlocks: 4
; VGPRBlocks: 6
; NumSGPRsForWavesPerEU: 34
; NumVGPRsForWavesPerEU: 28
; Occupancy: 9
; WaveLimiterHint : 0
; COMPUTE_PGM_RSRC2:SCRATCH_EN: 0
; COMPUTE_PGM_RSRC2:USER_SGPR: 6
; COMPUTE_PGM_RSRC2:TRAP_HANDLER: 0
; COMPUTE_PGM_RSRC2:TGID_X_EN: 1
; COMPUTE_PGM_RSRC2:TGID_Y_EN: 0
; COMPUTE_PGM_RSRC2:TGID_Z_EN: 0
; COMPUTE_PGM_RSRC2:TIDIG_COMP_CNT: 0
	.section	.text._ZN9rocsparseL13coomvt_kernelILj1024Ei21rocsparse_complex_numIdES2_S2_S2_EEv20rocsparse_operation_lNS_24const_host_device_scalarIT4_EEPKT0_S9_PKT1_PKT2_PT3_21rocsparse_index_base_b,"axG",@progbits,_ZN9rocsparseL13coomvt_kernelILj1024Ei21rocsparse_complex_numIdES2_S2_S2_EEv20rocsparse_operation_lNS_24const_host_device_scalarIT4_EEPKT0_S9_PKT1_PKT2_PT3_21rocsparse_index_base_b,comdat
	.globl	_ZN9rocsparseL13coomvt_kernelILj1024Ei21rocsparse_complex_numIdES2_S2_S2_EEv20rocsparse_operation_lNS_24const_host_device_scalarIT4_EEPKT0_S9_PKT1_PKT2_PT3_21rocsparse_index_base_b ; -- Begin function _ZN9rocsparseL13coomvt_kernelILj1024Ei21rocsparse_complex_numIdES2_S2_S2_EEv20rocsparse_operation_lNS_24const_host_device_scalarIT4_EEPKT0_S9_PKT1_PKT2_PT3_21rocsparse_index_base_b
	.p2align	8
	.type	_ZN9rocsparseL13coomvt_kernelILj1024Ei21rocsparse_complex_numIdES2_S2_S2_EEv20rocsparse_operation_lNS_24const_host_device_scalarIT4_EEPKT0_S9_PKT1_PKT2_PT3_21rocsparse_index_base_b,@function
_ZN9rocsparseL13coomvt_kernelILj1024Ei21rocsparse_complex_numIdES2_S2_S2_EEv20rocsparse_operation_lNS_24const_host_device_scalarIT4_EEPKT0_S9_PKT1_PKT2_PT3_21rocsparse_index_base_b: ; @_ZN9rocsparseL13coomvt_kernelILj1024Ei21rocsparse_complex_numIdES2_S2_S2_EEv20rocsparse_operation_lNS_24const_host_device_scalarIT4_EEPKT0_S9_PKT1_PKT2_PT3_21rocsparse_index_base_b
; %bb.0:
	s_load_dwordx2 s[2:3], s[4:5], 0x48
	s_load_dwordx4 s[8:11], s[4:5], 0x8
	s_add_u32 s0, s4, 16
	s_addc_u32 s1, s5, 0
	s_waitcnt lgkmcnt(0)
	s_bitcmp1_b32 s3, 0
	s_cselect_b32 s1, s1, s11
	s_cselect_b32 s0, s0, s10
	v_mov_b32_e32 v1, s0
	v_mov_b32_e32 v2, s1
	flat_load_dwordx4 v[1:4], v[1:2]
	s_waitcnt vmcnt(0) lgkmcnt(0)
	v_cmp_neq_f64_e32 vcc, 0, v[1:2]
	v_cmp_neq_f64_e64 s[0:1], 0, v[3:4]
	s_or_b64 s[0:1], vcc, s[0:1]
	s_and_saveexec_b64 s[10:11], s[0:1]
	s_cbranch_execz .LBB34_6
; %bb.1:
	s_load_dword s0, s[4:5], 0x5c
	v_mov_b32_e32 v6, 0
	s_waitcnt lgkmcnt(0)
	s_and_b32 s0, s0, 0xffff
	s_mul_i32 s6, s6, s0
	v_add_u32_e32 v5, s6, v0
	v_cmp_gt_i64_e32 vcc, s[8:9], v[5:6]
	s_and_b64 exec, exec, vcc
	s_cbranch_execz .LBB34_6
; %bb.2:
	s_load_dwordx8 s[8:15], s[4:5], 0x20
	v_lshlrev_b64 v[7:8], 2, v[5:6]
	v_lshlrev_b64 v[5:6], 4, v[5:6]
	s_waitcnt lgkmcnt(0)
	v_mov_b32_e32 v0, s9
	v_add_co_u32_e32 v9, vcc, s8, v7
	v_addc_co_u32_e32 v10, vcc, v0, v8, vcc
	global_load_dword v0, v[9:10], off
	v_mov_b32_e32 v9, s11
	v_add_co_u32_e32 v7, vcc, s10, v7
	v_addc_co_u32_e32 v8, vcc, v9, v8, vcc
	global_load_dword v7, v[7:8], off
	v_mov_b32_e32 v8, s13
	v_add_co_u32_e32 v5, vcc, s12, v5
	v_addc_co_u32_e32 v6, vcc, v8, v6, vcc
	global_load_dwordx4 v[13:16], v[5:6], off
	s_load_dword s3, s[4:5], 0x0
	s_load_dwordx2 s[0:1], s[4:5], 0x40
	v_mov_b32_e32 v11, s15
	s_waitcnt lgkmcnt(0)
	s_cmpk_eq_i32 s3, 0x71
	s_cselect_b64 vcc, -1, 0
	s_waitcnt vmcnt(2)
	v_subrev_u32_e32 v5, s2, v0
	v_ashrrev_i32_e32 v6, 31, v5
	v_lshlrev_b64 v[5:6], 4, v[5:6]
	s_waitcnt vmcnt(1)
	v_subrev_u32_e32 v7, s2, v7
	v_ashrrev_i32_e32 v8, 31, v7
	v_lshlrev_b64 v[9:10], 4, v[7:8]
	s_waitcnt vmcnt(0)
	v_xor_b32_e32 v0, 0x80000000, v16
	v_cndmask_b32_e32 v16, v16, v0, vcc
	v_add_co_u32_e32 v5, vcc, s14, v5
	v_addc_co_u32_e32 v6, vcc, v11, v6, vcc
	global_load_dwordx4 v[5:8], v[5:6], off
	v_mul_f64 v[11:12], v[15:16], -v[3:4]
	v_mul_f64 v[15:16], v[1:2], v[15:16]
	v_mov_b32_e32 v0, s1
	v_add_co_u32_e32 v9, vcc, s0, v9
	v_addc_co_u32_e32 v10, vcc, v0, v10, vcc
	s_mov_b64 s[0:1], 0
	v_fma_f64 v[11:12], v[1:2], v[13:14], v[11:12]
	v_fma_f64 v[13:14], v[3:4], v[13:14], v[15:16]
	global_load_dwordx2 v[2:3], v[9:10], off
	s_waitcnt vmcnt(1)
	v_mul_f64 v[0:1], v[7:8], -v[13:14]
	v_fma_f64 v[15:16], v[11:12], v[5:6], v[0:1]
.LBB34_3:                               ; =>This Inner Loop Header: Depth=1
	s_waitcnt vmcnt(0)
	v_add_f64 v[0:1], v[2:3], v[15:16]
	global_atomic_cmpswap_x2 v[0:1], v[9:10], v[0:3], off glc
	s_waitcnt vmcnt(0)
	v_cmp_eq_u64_e32 vcc, v[0:1], v[2:3]
	v_mov_b32_e32 v3, v1
	s_or_b64 s[0:1], vcc, s[0:1]
	v_mov_b32_e32 v2, v0
	s_andn2_b64 exec, exec, s[0:1]
	s_cbranch_execnz .LBB34_3
; %bb.4:
	s_or_b64 exec, exec, s[0:1]
	global_load_dwordx2 v[2:3], v[9:10], off offset:8
	v_mul_f64 v[0:1], v[11:12], v[7:8]
	s_mov_b64 s[0:1], 0
	v_fma_f64 v[4:5], v[13:14], v[5:6], v[0:1]
.LBB34_5:                               ; =>This Inner Loop Header: Depth=1
	s_waitcnt vmcnt(0)
	v_add_f64 v[0:1], v[2:3], v[4:5]
	global_atomic_cmpswap_x2 v[0:1], v[9:10], v[0:3], off offset:8 glc
	s_waitcnt vmcnt(0)
	v_cmp_eq_u64_e32 vcc, v[0:1], v[2:3]
	v_mov_b32_e32 v3, v1
	s_or_b64 s[0:1], vcc, s[0:1]
	v_mov_b32_e32 v2, v0
	s_andn2_b64 exec, exec, s[0:1]
	s_cbranch_execnz .LBB34_5
.LBB34_6:
	s_endpgm
	.section	.rodata,"a",@progbits
	.p2align	6, 0x0
	.amdhsa_kernel _ZN9rocsparseL13coomvt_kernelILj1024Ei21rocsparse_complex_numIdES2_S2_S2_EEv20rocsparse_operation_lNS_24const_host_device_scalarIT4_EEPKT0_S9_PKT1_PKT2_PT3_21rocsparse_index_base_b
		.amdhsa_group_segment_fixed_size 0
		.amdhsa_private_segment_fixed_size 0
		.amdhsa_kernarg_size 336
		.amdhsa_user_sgpr_count 6
		.amdhsa_user_sgpr_private_segment_buffer 1
		.amdhsa_user_sgpr_dispatch_ptr 0
		.amdhsa_user_sgpr_queue_ptr 0
		.amdhsa_user_sgpr_kernarg_segment_ptr 1
		.amdhsa_user_sgpr_dispatch_id 0
		.amdhsa_user_sgpr_flat_scratch_init 0
		.amdhsa_user_sgpr_private_segment_size 0
		.amdhsa_uses_dynamic_stack 0
		.amdhsa_system_sgpr_private_segment_wavefront_offset 0
		.amdhsa_system_sgpr_workgroup_id_x 1
		.amdhsa_system_sgpr_workgroup_id_y 0
		.amdhsa_system_sgpr_workgroup_id_z 0
		.amdhsa_system_sgpr_workgroup_info 0
		.amdhsa_system_vgpr_workitem_id 0
		.amdhsa_next_free_vgpr 17
		.amdhsa_next_free_sgpr 16
		.amdhsa_reserve_vcc 1
		.amdhsa_reserve_flat_scratch 0
		.amdhsa_float_round_mode_32 0
		.amdhsa_float_round_mode_16_64 0
		.amdhsa_float_denorm_mode_32 3
		.amdhsa_float_denorm_mode_16_64 3
		.amdhsa_dx10_clamp 1
		.amdhsa_ieee_mode 1
		.amdhsa_fp16_overflow 0
		.amdhsa_exception_fp_ieee_invalid_op 0
		.amdhsa_exception_fp_denorm_src 0
		.amdhsa_exception_fp_ieee_div_zero 0
		.amdhsa_exception_fp_ieee_overflow 0
		.amdhsa_exception_fp_ieee_underflow 0
		.amdhsa_exception_fp_ieee_inexact 0
		.amdhsa_exception_int_div_zero 0
	.end_amdhsa_kernel
	.section	.text._ZN9rocsparseL13coomvt_kernelILj1024Ei21rocsparse_complex_numIdES2_S2_S2_EEv20rocsparse_operation_lNS_24const_host_device_scalarIT4_EEPKT0_S9_PKT1_PKT2_PT3_21rocsparse_index_base_b,"axG",@progbits,_ZN9rocsparseL13coomvt_kernelILj1024Ei21rocsparse_complex_numIdES2_S2_S2_EEv20rocsparse_operation_lNS_24const_host_device_scalarIT4_EEPKT0_S9_PKT1_PKT2_PT3_21rocsparse_index_base_b,comdat
.Lfunc_end34:
	.size	_ZN9rocsparseL13coomvt_kernelILj1024Ei21rocsparse_complex_numIdES2_S2_S2_EEv20rocsparse_operation_lNS_24const_host_device_scalarIT4_EEPKT0_S9_PKT1_PKT2_PT3_21rocsparse_index_base_b, .Lfunc_end34-_ZN9rocsparseL13coomvt_kernelILj1024Ei21rocsparse_complex_numIdES2_S2_S2_EEv20rocsparse_operation_lNS_24const_host_device_scalarIT4_EEPKT0_S9_PKT1_PKT2_PT3_21rocsparse_index_base_b
                                        ; -- End function
	.set _ZN9rocsparseL13coomvt_kernelILj1024Ei21rocsparse_complex_numIdES2_S2_S2_EEv20rocsparse_operation_lNS_24const_host_device_scalarIT4_EEPKT0_S9_PKT1_PKT2_PT3_21rocsparse_index_base_b.num_vgpr, 17
	.set _ZN9rocsparseL13coomvt_kernelILj1024Ei21rocsparse_complex_numIdES2_S2_S2_EEv20rocsparse_operation_lNS_24const_host_device_scalarIT4_EEPKT0_S9_PKT1_PKT2_PT3_21rocsparse_index_base_b.num_agpr, 0
	.set _ZN9rocsparseL13coomvt_kernelILj1024Ei21rocsparse_complex_numIdES2_S2_S2_EEv20rocsparse_operation_lNS_24const_host_device_scalarIT4_EEPKT0_S9_PKT1_PKT2_PT3_21rocsparse_index_base_b.numbered_sgpr, 16
	.set _ZN9rocsparseL13coomvt_kernelILj1024Ei21rocsparse_complex_numIdES2_S2_S2_EEv20rocsparse_operation_lNS_24const_host_device_scalarIT4_EEPKT0_S9_PKT1_PKT2_PT3_21rocsparse_index_base_b.num_named_barrier, 0
	.set _ZN9rocsparseL13coomvt_kernelILj1024Ei21rocsparse_complex_numIdES2_S2_S2_EEv20rocsparse_operation_lNS_24const_host_device_scalarIT4_EEPKT0_S9_PKT1_PKT2_PT3_21rocsparse_index_base_b.private_seg_size, 0
	.set _ZN9rocsparseL13coomvt_kernelILj1024Ei21rocsparse_complex_numIdES2_S2_S2_EEv20rocsparse_operation_lNS_24const_host_device_scalarIT4_EEPKT0_S9_PKT1_PKT2_PT3_21rocsparse_index_base_b.uses_vcc, 1
	.set _ZN9rocsparseL13coomvt_kernelILj1024Ei21rocsparse_complex_numIdES2_S2_S2_EEv20rocsparse_operation_lNS_24const_host_device_scalarIT4_EEPKT0_S9_PKT1_PKT2_PT3_21rocsparse_index_base_b.uses_flat_scratch, 0
	.set _ZN9rocsparseL13coomvt_kernelILj1024Ei21rocsparse_complex_numIdES2_S2_S2_EEv20rocsparse_operation_lNS_24const_host_device_scalarIT4_EEPKT0_S9_PKT1_PKT2_PT3_21rocsparse_index_base_b.has_dyn_sized_stack, 0
	.set _ZN9rocsparseL13coomvt_kernelILj1024Ei21rocsparse_complex_numIdES2_S2_S2_EEv20rocsparse_operation_lNS_24const_host_device_scalarIT4_EEPKT0_S9_PKT1_PKT2_PT3_21rocsparse_index_base_b.has_recursion, 0
	.set _ZN9rocsparseL13coomvt_kernelILj1024Ei21rocsparse_complex_numIdES2_S2_S2_EEv20rocsparse_operation_lNS_24const_host_device_scalarIT4_EEPKT0_S9_PKT1_PKT2_PT3_21rocsparse_index_base_b.has_indirect_call, 0
	.section	.AMDGPU.csdata,"",@progbits
; Kernel info:
; codeLenInByte = 528
; TotalNumSgprs: 20
; NumVgprs: 17
; ScratchSize: 0
; MemoryBound: 0
; FloatMode: 240
; IeeeMode: 1
; LDSByteSize: 0 bytes/workgroup (compile time only)
; SGPRBlocks: 2
; VGPRBlocks: 4
; NumSGPRsForWavesPerEU: 20
; NumVGPRsForWavesPerEU: 17
; Occupancy: 10
; WaveLimiterHint : 1
; COMPUTE_PGM_RSRC2:SCRATCH_EN: 0
; COMPUTE_PGM_RSRC2:USER_SGPR: 6
; COMPUTE_PGM_RSRC2:TRAP_HANDLER: 0
; COMPUTE_PGM_RSRC2:TGID_X_EN: 1
; COMPUTE_PGM_RSRC2:TGID_Y_EN: 0
; COMPUTE_PGM_RSRC2:TGID_Z_EN: 0
; COMPUTE_PGM_RSRC2:TIDIG_COMP_CNT: 0
	.section	.text._ZN9rocsparseL19coomvn_atomic_loopsILj256ELj1Ei21rocsparse_complex_numIdES2_S2_S2_EEvlNS_24const_host_device_scalarIT5_EEPKT1_S8_PKT2_PKT3_PT4_21rocsparse_index_base_b,"axG",@progbits,_ZN9rocsparseL19coomvn_atomic_loopsILj256ELj1Ei21rocsparse_complex_numIdES2_S2_S2_EEvlNS_24const_host_device_scalarIT5_EEPKT1_S8_PKT2_PKT3_PT4_21rocsparse_index_base_b,comdat
	.globl	_ZN9rocsparseL19coomvn_atomic_loopsILj256ELj1Ei21rocsparse_complex_numIdES2_S2_S2_EEvlNS_24const_host_device_scalarIT5_EEPKT1_S8_PKT2_PKT3_PT4_21rocsparse_index_base_b ; -- Begin function _ZN9rocsparseL19coomvn_atomic_loopsILj256ELj1Ei21rocsparse_complex_numIdES2_S2_S2_EEvlNS_24const_host_device_scalarIT5_EEPKT1_S8_PKT2_PKT3_PT4_21rocsparse_index_base_b
	.p2align	8
	.type	_ZN9rocsparseL19coomvn_atomic_loopsILj256ELj1Ei21rocsparse_complex_numIdES2_S2_S2_EEvlNS_24const_host_device_scalarIT5_EEPKT1_S8_PKT2_PKT3_PT4_21rocsparse_index_base_b,@function
_ZN9rocsparseL19coomvn_atomic_loopsILj256ELj1Ei21rocsparse_complex_numIdES2_S2_S2_EEvlNS_24const_host_device_scalarIT5_EEPKT1_S8_PKT2_PKT3_PT4_21rocsparse_index_base_b: ; @_ZN9rocsparseL19coomvn_atomic_loopsILj256ELj1Ei21rocsparse_complex_numIdES2_S2_S2_EEvlNS_24const_host_device_scalarIT5_EEPKT1_S8_PKT2_PKT3_PT4_21rocsparse_index_base_b
; %bb.0:
	s_load_dwordx2 s[2:3], s[4:5], 0x40
	s_load_dwordx4 s[8:11], s[4:5], 0x0
	s_or_b32 s0, s4, 8
	s_waitcnt lgkmcnt(0)
	s_bitcmp1_b32 s3, 0
	s_cselect_b32 s1, s5, s11
	s_cselect_b32 s0, s0, s10
	v_mov_b32_e32 v1, s0
	v_mov_b32_e32 v2, s1
	flat_load_dwordx4 v[1:4], v[1:2]
	s_waitcnt vmcnt(0) lgkmcnt(0)
	v_cmp_neq_f64_e32 vcc, 0, v[1:2]
	v_cmp_neq_f64_e64 s[0:1], 0, v[3:4]
	s_or_b64 s[0:1], vcc, s[0:1]
	s_and_saveexec_b64 s[10:11], s[0:1]
	s_cbranch_execz .LBB35_46
; %bb.1:
	v_mov_b32_e32 v5, 0
	v_lshl_or_b32 v9, s6, 8, v0
	v_mov_b32_e32 v10, 0
	v_mov_b32_e32 v6, 0
	v_cmp_gt_i64_e32 vcc, s[8:9], v[9:10]
	v_mov_b32_e32 v8, v6
	v_mov_b32_e32 v13, -1
	v_mov_b32_e32 v7, v5
	s_and_saveexec_b64 s[0:1], vcc
	s_cbranch_execz .LBB35_3
; %bb.2:
	s_load_dwordx8 s[8:15], s[4:5], 0x18
	v_lshlrev_b64 v[13:14], 2, v[9:10]
	s_waitcnt lgkmcnt(0)
	v_mov_b32_e32 v6, s11
	v_add_co_u32_e32 v5, vcc, s10, v13
	v_addc_co_u32_e32 v6, vcc, v6, v14, vcc
	global_load_dword v11, v[5:6], off glc slc
	v_lshlrev_b64 v[5:6], 4, v[9:10]
	v_mov_b32_e32 v7, s13
	v_add_co_u32_e32 v5, vcc, s12, v5
	v_addc_co_u32_e32 v6, vcc, v7, v6, vcc
	v_mov_b32_e32 v12, s15
	global_load_dwordx4 v[5:8], v[5:6], off glc slc
	v_mov_b32_e32 v15, s9
	s_waitcnt vmcnt(1)
	v_subrev_u32_e32 v9, s2, v11
	v_ashrrev_i32_e32 v10, 31, v9
	v_lshlrev_b64 v[9:10], 4, v[9:10]
	v_add_co_u32_e32 v9, vcc, s14, v9
	v_addc_co_u32_e32 v10, vcc, v12, v10, vcc
	global_load_dwordx4 v[9:12], v[9:10], off
	v_add_co_u32_e32 v13, vcc, s8, v13
	v_addc_co_u32_e32 v14, vcc, v15, v14, vcc
	global_load_dword v15, v[13:14], off glc slc
	s_waitcnt vmcnt(1)
	v_mul_f64 v[13:14], v[11:12], -v[7:8]
	v_mul_f64 v[11:12], v[5:6], v[11:12]
	v_fma_f64 v[5:6], v[5:6], v[9:10], v[13:14]
	v_fma_f64 v[7:8], v[7:8], v[9:10], v[11:12]
	s_waitcnt vmcnt(0)
	v_subrev_u32_e32 v13, s2, v15
.LBB35_3:
	s_or_b64 exec, exec, s[0:1]
	v_lshlrev_b32_e32 v10, 2, v0
	v_or_b32_e32 v9, 0x1000, v10
	ds_write_b32 v10, v13 offset:4096
	v_lshlrev_b32_e32 v10, 4, v0
	v_cmp_ne_u32_e32 vcc, 0, v0
	ds_write_b128 v10, v[5:8]
	s_waitcnt lgkmcnt(0)
	s_barrier
	s_and_saveexec_b64 s[0:1], vcc
	s_cbranch_execz .LBB35_7
; %bb.4:
	v_add_u32_e32 v11, -4, v9
	ds_read_b32 v11, v11
	s_waitcnt lgkmcnt(0)
	v_cmp_eq_u32_e32 vcc, v13, v11
	s_and_saveexec_b64 s[2:3], vcc
	s_cbranch_execz .LBB35_6
; %bb.5:
	v_add_u32_e32 v11, -16, v10
	ds_read_b128 v[14:17], v11
	s_waitcnt lgkmcnt(0)
	v_add_f64 v[5:6], v[5:6], v[14:15]
	v_add_f64 v[7:8], v[7:8], v[16:17]
.LBB35_6:
	s_or_b64 exec, exec, s[2:3]
.LBB35_7:
	s_or_b64 exec, exec, s[0:1]
	v_cmp_lt_u32_e32 vcc, 1, v0
	s_barrier
	ds_write_b128 v10, v[5:8]
	s_waitcnt lgkmcnt(0)
	s_barrier
	s_and_saveexec_b64 s[0:1], vcc
	s_cbranch_execz .LBB35_11
; %bb.8:
	v_add_u32_e32 v11, -8, v9
	ds_read_b32 v11, v11
	s_waitcnt lgkmcnt(0)
	v_cmp_eq_u32_e32 vcc, v13, v11
	s_and_saveexec_b64 s[2:3], vcc
	s_cbranch_execz .LBB35_10
; %bb.9:
	v_subrev_u32_e32 v11, 32, v10
	ds_read_b128 v[14:17], v11
	s_waitcnt lgkmcnt(0)
	v_add_f64 v[5:6], v[5:6], v[14:15]
	v_add_f64 v[7:8], v[7:8], v[16:17]
.LBB35_10:
	s_or_b64 exec, exec, s[2:3]
.LBB35_11:
	s_or_b64 exec, exec, s[0:1]
	v_cmp_lt_u32_e32 vcc, 3, v0
	s_barrier
	ds_write_b128 v10, v[5:8]
	s_waitcnt lgkmcnt(0)
	s_barrier
	s_and_saveexec_b64 s[0:1], vcc
	s_cbranch_execz .LBB35_15
; %bb.12:
	v_add_u32_e32 v11, -16, v9
	ds_read_b32 v11, v11
	s_waitcnt lgkmcnt(0)
	v_cmp_eq_u32_e32 vcc, v13, v11
	s_and_saveexec_b64 s[2:3], vcc
	s_cbranch_execz .LBB35_14
; %bb.13:
	v_subrev_u32_e32 v11, 64, v10
	ds_read_b128 v[14:17], v11
	s_waitcnt lgkmcnt(0)
	v_add_f64 v[5:6], v[5:6], v[14:15]
	v_add_f64 v[7:8], v[7:8], v[16:17]
.LBB35_14:
	s_or_b64 exec, exec, s[2:3]
.LBB35_15:
	s_or_b64 exec, exec, s[0:1]
	v_cmp_lt_u32_e32 vcc, 7, v0
	s_barrier
	ds_write_b128 v10, v[5:8]
	s_waitcnt lgkmcnt(0)
	s_barrier
	s_and_saveexec_b64 s[0:1], vcc
	s_cbranch_execz .LBB35_19
; %bb.16:
	v_subrev_u32_e32 v11, 32, v9
	ds_read_b32 v11, v11
	s_waitcnt lgkmcnt(0)
	v_cmp_eq_u32_e32 vcc, v13, v11
	s_and_saveexec_b64 s[2:3], vcc
	s_cbranch_execz .LBB35_18
; %bb.17:
	v_add_u32_e32 v11, 0xffffff80, v10
	ds_read_b128 v[14:17], v11
	s_waitcnt lgkmcnt(0)
	v_add_f64 v[5:6], v[5:6], v[14:15]
	v_add_f64 v[7:8], v[7:8], v[16:17]
.LBB35_18:
	s_or_b64 exec, exec, s[2:3]
.LBB35_19:
	s_or_b64 exec, exec, s[0:1]
	v_cmp_lt_u32_e32 vcc, 15, v0
	s_barrier
	ds_write_b128 v10, v[5:8]
	s_waitcnt lgkmcnt(0)
	s_barrier
	s_and_saveexec_b64 s[0:1], vcc
	s_cbranch_execz .LBB35_23
; %bb.20:
	v_subrev_u32_e32 v11, 64, v9
	ds_read_b32 v11, v11
	s_waitcnt lgkmcnt(0)
	v_cmp_eq_u32_e32 vcc, v13, v11
	s_and_saveexec_b64 s[2:3], vcc
	s_cbranch_execz .LBB35_22
; %bb.21:
	v_add_u32_e32 v11, 0xffffff00, v10
	ds_read_b128 v[14:17], v11
	s_waitcnt lgkmcnt(0)
	v_add_f64 v[5:6], v[5:6], v[14:15]
	v_add_f64 v[7:8], v[7:8], v[16:17]
.LBB35_22:
	s_or_b64 exec, exec, s[2:3]
.LBB35_23:
	s_or_b64 exec, exec, s[0:1]
	v_cmp_lt_u32_e32 vcc, 31, v0
	s_barrier
	ds_write_b128 v10, v[5:8]
	s_waitcnt lgkmcnt(0)
	s_barrier
	s_and_saveexec_b64 s[0:1], vcc
	s_cbranch_execz .LBB35_27
; %bb.24:
	v_add_u32_e32 v11, 0xffffff80, v9
	ds_read_b32 v11, v11
	s_waitcnt lgkmcnt(0)
	v_cmp_eq_u32_e32 vcc, v13, v11
	s_and_saveexec_b64 s[2:3], vcc
	s_cbranch_execz .LBB35_26
; %bb.25:
	v_add_u32_e32 v11, 0xfffffe00, v10
	ds_read_b128 v[14:17], v11
	s_waitcnt lgkmcnt(0)
	v_add_f64 v[5:6], v[5:6], v[14:15]
	v_add_f64 v[7:8], v[7:8], v[16:17]
.LBB35_26:
	s_or_b64 exec, exec, s[2:3]
.LBB35_27:
	s_or_b64 exec, exec, s[0:1]
	v_cmp_lt_u32_e32 vcc, 63, v0
	s_barrier
	ds_write_b128 v10, v[5:8]
	s_waitcnt lgkmcnt(0)
	s_barrier
	s_and_saveexec_b64 s[0:1], vcc
	s_cbranch_execz .LBB35_31
; %bb.28:
	v_add_u32_e32 v11, 0xffffff00, v9
	ds_read_b32 v11, v11
	s_waitcnt lgkmcnt(0)
	v_cmp_eq_u32_e32 vcc, v13, v11
	s_and_saveexec_b64 s[2:3], vcc
	s_cbranch_execz .LBB35_30
; %bb.29:
	v_add_u32_e32 v11, 0xfffffc00, v10
	ds_read_b128 v[14:17], v11
	s_waitcnt lgkmcnt(0)
	v_add_f64 v[5:6], v[5:6], v[14:15]
	v_add_f64 v[7:8], v[7:8], v[16:17]
.LBB35_30:
	s_or_b64 exec, exec, s[2:3]
.LBB35_31:
	s_or_b64 exec, exec, s[0:1]
	s_load_dwordx2 s[2:3], s[4:5], 0x38
	s_movk_i32 s0, 0x7f
	v_cmp_lt_u32_e32 vcc, s0, v0
	s_waitcnt lgkmcnt(0)
	s_barrier
	ds_write_b128 v10, v[5:8]
	s_waitcnt lgkmcnt(0)
	s_barrier
	s_and_saveexec_b64 s[0:1], vcc
	s_cbranch_execz .LBB35_35
; %bb.32:
	v_add_u32_e32 v11, 0xfffffe00, v9
	ds_read_b32 v11, v11
	s_waitcnt lgkmcnt(0)
	v_cmp_eq_u32_e32 vcc, v13, v11
	s_and_saveexec_b64 s[4:5], vcc
	s_cbranch_execz .LBB35_34
; %bb.33:
	v_add_u32_e32 v11, 0xfffff800, v10
	ds_read_b128 v[14:17], v11
	s_waitcnt lgkmcnt(0)
	v_add_f64 v[5:6], v[5:6], v[14:15]
	v_add_f64 v[7:8], v[7:8], v[16:17]
.LBB35_34:
	s_or_b64 exec, exec, s[4:5]
.LBB35_35:
	s_or_b64 exec, exec, s[0:1]
	s_movk_i32 s6, 0xff
	v_cmp_gt_u32_e32 vcc, s6, v0
	s_barrier
	ds_write_b128 v10, v[5:8]
	s_waitcnt lgkmcnt(0)
	s_barrier
	s_and_saveexec_b64 s[4:5], vcc
	s_cbranch_execz .LBB35_41
; %bb.36:
	ds_read_b32 v9, v9 offset:4
	v_cmp_lt_i32_e64 s[0:1], -1, v13
	s_waitcnt lgkmcnt(0)
	v_cmp_ne_u32_e32 vcc, v13, v9
	s_and_b64 s[0:1], s[0:1], vcc
	s_and_b64 exec, exec, s[0:1]
	s_cbranch_execz .LBB35_41
; %bb.37:
	v_mov_b32_e32 v14, 0
	v_lshlrev_b64 v[9:10], 4, v[13:14]
	v_mov_b32_e32 v11, s3
	v_add_co_u32_e32 v14, vcc, s2, v9
	v_addc_co_u32_e32 v15, vcc, v11, v10, vcc
	global_load_dwordx2 v[11:12], v[14:15], off
	v_mul_f64 v[9:10], v[7:8], -v[3:4]
	s_mov_b64 s[0:1], 0
	v_fma_f64 v[16:17], v[1:2], v[5:6], v[9:10]
.LBB35_38:                              ; =>This Inner Loop Header: Depth=1
	s_waitcnt vmcnt(0)
	v_add_f64 v[9:10], v[11:12], v[16:17]
	global_atomic_cmpswap_x2 v[9:10], v[14:15], v[9:12], off glc
	s_waitcnt vmcnt(0)
	v_cmp_eq_u64_e32 vcc, v[9:10], v[11:12]
	v_mov_b32_e32 v12, v10
	s_or_b64 s[0:1], vcc, s[0:1]
	v_mov_b32_e32 v11, v9
	s_andn2_b64 exec, exec, s[0:1]
	s_cbranch_execnz .LBB35_38
; %bb.39:
	s_or_b64 exec, exec, s[0:1]
	global_load_dwordx2 v[11:12], v[14:15], off offset:8
	v_mul_f64 v[9:10], v[1:2], v[7:8]
	s_mov_b64 s[0:1], 0
	v_fma_f64 v[16:17], v[3:4], v[5:6], v[9:10]
.LBB35_40:                              ; =>This Inner Loop Header: Depth=1
	s_waitcnt vmcnt(0)
	v_add_f64 v[9:10], v[11:12], v[16:17]
	global_atomic_cmpswap_x2 v[9:10], v[14:15], v[9:12], off offset:8 glc
	s_waitcnt vmcnt(0)
	v_cmp_eq_u64_e32 vcc, v[9:10], v[11:12]
	v_mov_b32_e32 v12, v10
	s_or_b64 s[0:1], vcc, s[0:1]
	v_mov_b32_e32 v11, v9
	s_andn2_b64 exec, exec, s[0:1]
	s_cbranch_execnz .LBB35_40
.LBB35_41:
	s_or_b64 exec, exec, s[4:5]
	v_cmp_eq_u32_e32 vcc, s6, v0
	v_cmp_lt_i32_e64 s[0:1], -1, v13
	s_and_b64 s[0:1], vcc, s[0:1]
	s_and_b64 exec, exec, s[0:1]
	s_cbranch_execz .LBB35_46
; %bb.42:
	v_mov_b32_e32 v14, 0
	v_lshlrev_b64 v[9:10], 4, v[13:14]
	v_mov_b32_e32 v0, s3
	v_add_co_u32_e32 v13, vcc, s2, v9
	v_addc_co_u32_e32 v14, vcc, v0, v10, vcc
	global_load_dwordx2 v[11:12], v[13:14], off
	v_mul_f64 v[9:10], v[7:8], -v[3:4]
	s_mov_b64 s[0:1], 0
	v_fma_f64 v[15:16], v[1:2], v[5:6], v[9:10]
.LBB35_43:                              ; =>This Inner Loop Header: Depth=1
	s_waitcnt vmcnt(0)
	v_add_f64 v[9:10], v[11:12], v[15:16]
	global_atomic_cmpswap_x2 v[9:10], v[13:14], v[9:12], off glc
	s_waitcnt vmcnt(0)
	v_cmp_eq_u64_e32 vcc, v[9:10], v[11:12]
	v_mov_b32_e32 v12, v10
	s_or_b64 s[0:1], vcc, s[0:1]
	v_mov_b32_e32 v11, v9
	s_andn2_b64 exec, exec, s[0:1]
	s_cbranch_execnz .LBB35_43
; %bb.44:
	s_or_b64 exec, exec, s[0:1]
	global_load_dwordx2 v[9:10], v[13:14], off offset:8
	v_mul_f64 v[0:1], v[1:2], v[7:8]
	s_mov_b64 s[0:1], 0
	v_fma_f64 v[0:1], v[3:4], v[5:6], v[0:1]
.LBB35_45:                              ; =>This Inner Loop Header: Depth=1
	s_waitcnt vmcnt(0)
	v_add_f64 v[7:8], v[9:10], v[0:1]
	global_atomic_cmpswap_x2 v[2:3], v[13:14], v[7:10], off offset:8 glc
	s_waitcnt vmcnt(0)
	v_cmp_eq_u64_e32 vcc, v[2:3], v[9:10]
	v_mov_b32_e32 v10, v3
	s_or_b64 s[0:1], vcc, s[0:1]
	v_mov_b32_e32 v9, v2
	s_andn2_b64 exec, exec, s[0:1]
	s_cbranch_execnz .LBB35_45
.LBB35_46:
	s_endpgm
	.section	.rodata,"a",@progbits
	.p2align	6, 0x0
	.amdhsa_kernel _ZN9rocsparseL19coomvn_atomic_loopsILj256ELj1Ei21rocsparse_complex_numIdES2_S2_S2_EEvlNS_24const_host_device_scalarIT5_EEPKT1_S8_PKT2_PKT3_PT4_21rocsparse_index_base_b
		.amdhsa_group_segment_fixed_size 5120
		.amdhsa_private_segment_fixed_size 0
		.amdhsa_kernarg_size 72
		.amdhsa_user_sgpr_count 6
		.amdhsa_user_sgpr_private_segment_buffer 1
		.amdhsa_user_sgpr_dispatch_ptr 0
		.amdhsa_user_sgpr_queue_ptr 0
		.amdhsa_user_sgpr_kernarg_segment_ptr 1
		.amdhsa_user_sgpr_dispatch_id 0
		.amdhsa_user_sgpr_flat_scratch_init 0
		.amdhsa_user_sgpr_private_segment_size 0
		.amdhsa_uses_dynamic_stack 0
		.amdhsa_system_sgpr_private_segment_wavefront_offset 0
		.amdhsa_system_sgpr_workgroup_id_x 1
		.amdhsa_system_sgpr_workgroup_id_y 0
		.amdhsa_system_sgpr_workgroup_id_z 0
		.amdhsa_system_sgpr_workgroup_info 0
		.amdhsa_system_vgpr_workitem_id 0
		.amdhsa_next_free_vgpr 18
		.amdhsa_next_free_sgpr 16
		.amdhsa_reserve_vcc 1
		.amdhsa_reserve_flat_scratch 0
		.amdhsa_float_round_mode_32 0
		.amdhsa_float_round_mode_16_64 0
		.amdhsa_float_denorm_mode_32 3
		.amdhsa_float_denorm_mode_16_64 3
		.amdhsa_dx10_clamp 1
		.amdhsa_ieee_mode 1
		.amdhsa_fp16_overflow 0
		.amdhsa_exception_fp_ieee_invalid_op 0
		.amdhsa_exception_fp_denorm_src 0
		.amdhsa_exception_fp_ieee_div_zero 0
		.amdhsa_exception_fp_ieee_overflow 0
		.amdhsa_exception_fp_ieee_underflow 0
		.amdhsa_exception_fp_ieee_inexact 0
		.amdhsa_exception_int_div_zero 0
	.end_amdhsa_kernel
	.section	.text._ZN9rocsparseL19coomvn_atomic_loopsILj256ELj1Ei21rocsparse_complex_numIdES2_S2_S2_EEvlNS_24const_host_device_scalarIT5_EEPKT1_S8_PKT2_PKT3_PT4_21rocsparse_index_base_b,"axG",@progbits,_ZN9rocsparseL19coomvn_atomic_loopsILj256ELj1Ei21rocsparse_complex_numIdES2_S2_S2_EEvlNS_24const_host_device_scalarIT5_EEPKT1_S8_PKT2_PKT3_PT4_21rocsparse_index_base_b,comdat
.Lfunc_end35:
	.size	_ZN9rocsparseL19coomvn_atomic_loopsILj256ELj1Ei21rocsparse_complex_numIdES2_S2_S2_EEvlNS_24const_host_device_scalarIT5_EEPKT1_S8_PKT2_PKT3_PT4_21rocsparse_index_base_b, .Lfunc_end35-_ZN9rocsparseL19coomvn_atomic_loopsILj256ELj1Ei21rocsparse_complex_numIdES2_S2_S2_EEvlNS_24const_host_device_scalarIT5_EEPKT1_S8_PKT2_PKT3_PT4_21rocsparse_index_base_b
                                        ; -- End function
	.set _ZN9rocsparseL19coomvn_atomic_loopsILj256ELj1Ei21rocsparse_complex_numIdES2_S2_S2_EEvlNS_24const_host_device_scalarIT5_EEPKT1_S8_PKT2_PKT3_PT4_21rocsparse_index_base_b.num_vgpr, 18
	.set _ZN9rocsparseL19coomvn_atomic_loopsILj256ELj1Ei21rocsparse_complex_numIdES2_S2_S2_EEvlNS_24const_host_device_scalarIT5_EEPKT1_S8_PKT2_PKT3_PT4_21rocsparse_index_base_b.num_agpr, 0
	.set _ZN9rocsparseL19coomvn_atomic_loopsILj256ELj1Ei21rocsparse_complex_numIdES2_S2_S2_EEvlNS_24const_host_device_scalarIT5_EEPKT1_S8_PKT2_PKT3_PT4_21rocsparse_index_base_b.numbered_sgpr, 16
	.set _ZN9rocsparseL19coomvn_atomic_loopsILj256ELj1Ei21rocsparse_complex_numIdES2_S2_S2_EEvlNS_24const_host_device_scalarIT5_EEPKT1_S8_PKT2_PKT3_PT4_21rocsparse_index_base_b.num_named_barrier, 0
	.set _ZN9rocsparseL19coomvn_atomic_loopsILj256ELj1Ei21rocsparse_complex_numIdES2_S2_S2_EEvlNS_24const_host_device_scalarIT5_EEPKT1_S8_PKT2_PKT3_PT4_21rocsparse_index_base_b.private_seg_size, 0
	.set _ZN9rocsparseL19coomvn_atomic_loopsILj256ELj1Ei21rocsparse_complex_numIdES2_S2_S2_EEvlNS_24const_host_device_scalarIT5_EEPKT1_S8_PKT2_PKT3_PT4_21rocsparse_index_base_b.uses_vcc, 1
	.set _ZN9rocsparseL19coomvn_atomic_loopsILj256ELj1Ei21rocsparse_complex_numIdES2_S2_S2_EEvlNS_24const_host_device_scalarIT5_EEPKT1_S8_PKT2_PKT3_PT4_21rocsparse_index_base_b.uses_flat_scratch, 0
	.set _ZN9rocsparseL19coomvn_atomic_loopsILj256ELj1Ei21rocsparse_complex_numIdES2_S2_S2_EEvlNS_24const_host_device_scalarIT5_EEPKT1_S8_PKT2_PKT3_PT4_21rocsparse_index_base_b.has_dyn_sized_stack, 0
	.set _ZN9rocsparseL19coomvn_atomic_loopsILj256ELj1Ei21rocsparse_complex_numIdES2_S2_S2_EEvlNS_24const_host_device_scalarIT5_EEPKT1_S8_PKT2_PKT3_PT4_21rocsparse_index_base_b.has_recursion, 0
	.set _ZN9rocsparseL19coomvn_atomic_loopsILj256ELj1Ei21rocsparse_complex_numIdES2_S2_S2_EEvlNS_24const_host_device_scalarIT5_EEPKT1_S8_PKT2_PKT3_PT4_21rocsparse_index_base_b.has_indirect_call, 0
	.section	.AMDGPU.csdata,"",@progbits
; Kernel info:
; codeLenInByte = 1632
; TotalNumSgprs: 20
; NumVgprs: 18
; ScratchSize: 0
; MemoryBound: 0
; FloatMode: 240
; IeeeMode: 1
; LDSByteSize: 5120 bytes/workgroup (compile time only)
; SGPRBlocks: 2
; VGPRBlocks: 4
; NumSGPRsForWavesPerEU: 20
; NumVGPRsForWavesPerEU: 18
; Occupancy: 10
; WaveLimiterHint : 1
; COMPUTE_PGM_RSRC2:SCRATCH_EN: 0
; COMPUTE_PGM_RSRC2:USER_SGPR: 6
; COMPUTE_PGM_RSRC2:TRAP_HANDLER: 0
; COMPUTE_PGM_RSRC2:TGID_X_EN: 1
; COMPUTE_PGM_RSRC2:TGID_Y_EN: 0
; COMPUTE_PGM_RSRC2:TGID_Z_EN: 0
; COMPUTE_PGM_RSRC2:TIDIG_COMP_CNT: 0
	.section	.text._ZN9rocsparseL19coomvn_atomic_loopsILj256ELj2Ei21rocsparse_complex_numIdES2_S2_S2_EEvlNS_24const_host_device_scalarIT5_EEPKT1_S8_PKT2_PKT3_PT4_21rocsparse_index_base_b,"axG",@progbits,_ZN9rocsparseL19coomvn_atomic_loopsILj256ELj2Ei21rocsparse_complex_numIdES2_S2_S2_EEvlNS_24const_host_device_scalarIT5_EEPKT1_S8_PKT2_PKT3_PT4_21rocsparse_index_base_b,comdat
	.globl	_ZN9rocsparseL19coomvn_atomic_loopsILj256ELj2Ei21rocsparse_complex_numIdES2_S2_S2_EEvlNS_24const_host_device_scalarIT5_EEPKT1_S8_PKT2_PKT3_PT4_21rocsparse_index_base_b ; -- Begin function _ZN9rocsparseL19coomvn_atomic_loopsILj256ELj2Ei21rocsparse_complex_numIdES2_S2_S2_EEvlNS_24const_host_device_scalarIT5_EEPKT1_S8_PKT2_PKT3_PT4_21rocsparse_index_base_b
	.p2align	8
	.type	_ZN9rocsparseL19coomvn_atomic_loopsILj256ELj2Ei21rocsparse_complex_numIdES2_S2_S2_EEvlNS_24const_host_device_scalarIT5_EEPKT1_S8_PKT2_PKT3_PT4_21rocsparse_index_base_b,@function
_ZN9rocsparseL19coomvn_atomic_loopsILj256ELj2Ei21rocsparse_complex_numIdES2_S2_S2_EEvlNS_24const_host_device_scalarIT5_EEPKT1_S8_PKT2_PKT3_PT4_21rocsparse_index_base_b: ; @_ZN9rocsparseL19coomvn_atomic_loopsILj256ELj2Ei21rocsparse_complex_numIdES2_S2_S2_EEvlNS_24const_host_device_scalarIT5_EEPKT1_S8_PKT2_PKT3_PT4_21rocsparse_index_base_b
; %bb.0:
	s_load_dwordx2 s[34:35], s[4:5], 0x40
	s_load_dwordx4 s[36:39], s[4:5], 0x0
	s_or_b32 s0, s4, 8
	s_waitcnt lgkmcnt(0)
	s_bitcmp1_b32 s35, 0
	s_cselect_b32 s1, s5, s39
	s_cselect_b32 s0, s0, s38
	v_mov_b32_e32 v1, s0
	v_mov_b32_e32 v2, s1
	flat_load_dwordx4 v[1:4], v[1:2]
	s_waitcnt vmcnt(0) lgkmcnt(0)
	v_cmp_neq_f64_e32 vcc, 0, v[1:2]
	v_cmp_neq_f64_e64 s[0:1], 0, v[3:4]
	s_or_b64 s[0:1], vcc, s[0:1]
	s_and_saveexec_b64 s[2:3], s[0:1]
	s_cbranch_execz .LBB36_105
; %bb.1:
	s_load_dwordx8 s[24:31], s[4:5], 0x18
	v_mov_b32_e32 v5, 0
	v_lshl_or_b32 v15, s6, 9, v0
	v_mov_b32_e32 v16, 0
	v_mov_b32_e32 v6, 0
	v_cmp_gt_i64_e32 vcc, s[36:37], v[15:16]
	v_lshlrev_b64 v[13:14], 2, v[15:16]
	v_mov_b32_e32 v8, v6
	v_mov_b32_e32 v9, -1
	v_mov_b32_e32 v7, v5
	s_and_saveexec_b64 s[0:1], vcc
	s_cbranch_execz .LBB36_3
; %bb.2:
	s_waitcnt lgkmcnt(0)
	v_mov_b32_e32 v6, s27
	v_add_co_u32_e32 v5, vcc, s26, v13
	v_addc_co_u32_e32 v6, vcc, v6, v14, vcc
	global_load_dword v9, v[5:6], off glc slc
	v_lshlrev_b64 v[5:6], 4, v[15:16]
	v_mov_b32_e32 v7, s29
	v_add_co_u32_e32 v5, vcc, s28, v5
	v_addc_co_u32_e32 v6, vcc, v7, v6, vcc
	v_mov_b32_e32 v11, s31
	global_load_dwordx4 v[5:8], v[5:6], off glc slc
	v_mov_b32_e32 v17, s25
	s_waitcnt vmcnt(1)
	v_subrev_u32_e32 v9, s34, v9
	v_ashrrev_i32_e32 v10, 31, v9
	v_lshlrev_b64 v[9:10], 4, v[9:10]
	v_add_co_u32_e32 v9, vcc, s30, v9
	v_addc_co_u32_e32 v10, vcc, v11, v10, vcc
	global_load_dwordx4 v[9:12], v[9:10], off
	v_add_co_u32_e32 v16, vcc, s24, v13
	v_addc_co_u32_e32 v17, vcc, v17, v14, vcc
	global_load_dword v18, v[16:17], off glc slc
	s_waitcnt vmcnt(1)
	v_mul_f64 v[16:17], v[11:12], -v[7:8]
	v_mul_f64 v[11:12], v[5:6], v[11:12]
	v_fma_f64 v[5:6], v[5:6], v[9:10], v[16:17]
	v_fma_f64 v[7:8], v[7:8], v[9:10], v[11:12]
	s_waitcnt vmcnt(0)
	v_subrev_u32_e32 v9, s34, v18
.LBB36_3:
	s_or_b64 exec, exec, s[0:1]
	v_lshlrev_b32_e32 v10, 2, v0
	v_or_b32_e32 v20, 0x1000, v10
	v_lshlrev_b32_e32 v21, 4, v0
	v_cmp_eq_u32_e64 s[18:19], 0, v0
	v_cmp_ne_u32_e64 s[0:1], 0, v0
	v_add_u32_e32 v22, -4, v20
	ds_write_b32 v10, v9 offset:4096
	ds_write_b128 v21, v[5:8]
	s_waitcnt lgkmcnt(0)
	s_barrier
	s_and_saveexec_b64 s[2:3], s[0:1]
	s_cbranch_execz .LBB36_7
; %bb.4:
	ds_read_b32 v10, v22
	s_waitcnt lgkmcnt(0)
	v_cmp_eq_u32_e32 vcc, v9, v10
	s_and_saveexec_b64 s[6:7], vcc
	s_cbranch_execz .LBB36_6
; %bb.5:
	v_add_u32_e32 v10, -16, v21
	ds_read_b128 v[16:19], v10
	s_waitcnt lgkmcnt(0)
	v_add_f64 v[5:6], v[5:6], v[16:17]
	v_add_f64 v[7:8], v[7:8], v[18:19]
.LBB36_6:
	s_or_b64 exec, exec, s[6:7]
.LBB36_7:
	s_or_b64 exec, exec, s[2:3]
	v_cmp_lt_u32_e64 s[2:3], 1, v0
	v_add_u32_e32 v23, -8, v20
	s_barrier
	ds_write_b128 v21, v[5:8]
	s_waitcnt lgkmcnt(0)
	s_barrier
	s_and_saveexec_b64 s[6:7], s[2:3]
	s_cbranch_execz .LBB36_11
; %bb.8:
	ds_read_b32 v10, v23
	s_waitcnt lgkmcnt(0)
	v_cmp_eq_u32_e32 vcc, v9, v10
	s_and_saveexec_b64 s[8:9], vcc
	s_cbranch_execz .LBB36_10
; %bb.9:
	v_subrev_u32_e32 v10, 32, v21
	ds_read_b128 v[16:19], v10
	s_waitcnt lgkmcnt(0)
	v_add_f64 v[5:6], v[5:6], v[16:17]
	v_add_f64 v[7:8], v[7:8], v[18:19]
.LBB36_10:
	s_or_b64 exec, exec, s[8:9]
.LBB36_11:
	s_or_b64 exec, exec, s[6:7]
	v_cmp_lt_u32_e64 s[20:21], 3, v0
	v_add_u32_e32 v24, -16, v20
	s_barrier
	ds_write_b128 v21, v[5:8]
	s_waitcnt lgkmcnt(0)
	s_barrier
	s_and_saveexec_b64 s[6:7], s[20:21]
	s_cbranch_execz .LBB36_15
; %bb.12:
	ds_read_b32 v10, v24
	s_waitcnt lgkmcnt(0)
	v_cmp_eq_u32_e32 vcc, v9, v10
	s_and_saveexec_b64 s[8:9], vcc
	s_cbranch_execz .LBB36_14
; %bb.13:
	v_subrev_u32_e32 v10, 64, v21
	ds_read_b128 v[16:19], v10
	s_waitcnt lgkmcnt(0)
	v_add_f64 v[5:6], v[5:6], v[16:17]
	v_add_f64 v[7:8], v[7:8], v[18:19]
.LBB36_14:
	s_or_b64 exec, exec, s[8:9]
.LBB36_15:
	s_or_b64 exec, exec, s[6:7]
	v_cmp_lt_u32_e64 s[6:7], 7, v0
	v_subrev_u32_e32 v25, 32, v20
	s_barrier
	ds_write_b128 v21, v[5:8]
	s_waitcnt lgkmcnt(0)
	s_barrier
	s_and_saveexec_b64 s[8:9], s[6:7]
	s_cbranch_execz .LBB36_19
; %bb.16:
	ds_read_b32 v10, v25
	s_waitcnt lgkmcnt(0)
	v_cmp_eq_u32_e32 vcc, v9, v10
	s_and_saveexec_b64 s[10:11], vcc
	s_cbranch_execz .LBB36_18
; %bb.17:
	v_add_u32_e32 v10, 0xffffff80, v21
	ds_read_b128 v[16:19], v10
	s_waitcnt lgkmcnt(0)
	v_add_f64 v[5:6], v[5:6], v[16:17]
	v_add_f64 v[7:8], v[7:8], v[18:19]
.LBB36_18:
	s_or_b64 exec, exec, s[10:11]
.LBB36_19:
	s_or_b64 exec, exec, s[8:9]
	v_cmp_lt_u32_e64 s[8:9], 15, v0
	v_subrev_u32_e32 v26, 64, v20
	s_barrier
	ds_write_b128 v21, v[5:8]
	s_waitcnt lgkmcnt(0)
	s_barrier
	s_and_saveexec_b64 s[10:11], s[8:9]
	s_cbranch_execz .LBB36_23
; %bb.20:
	ds_read_b32 v10, v26
	s_waitcnt lgkmcnt(0)
	v_cmp_eq_u32_e32 vcc, v9, v10
	s_and_saveexec_b64 s[12:13], vcc
	s_cbranch_execz .LBB36_22
; %bb.21:
	v_add_u32_e32 v10, 0xffffff00, v21
	ds_read_b128 v[16:19], v10
	s_waitcnt lgkmcnt(0)
	v_add_f64 v[5:6], v[5:6], v[16:17]
	v_add_f64 v[7:8], v[7:8], v[18:19]
.LBB36_22:
	s_or_b64 exec, exec, s[12:13]
.LBB36_23:
	s_or_b64 exec, exec, s[10:11]
	v_cmp_lt_u32_e64 s[10:11], 31, v0
	s_barrier
	ds_write_b128 v21, v[5:8]
	s_waitcnt lgkmcnt(0)
	s_barrier
	s_and_saveexec_b64 s[12:13], s[10:11]
	s_cbranch_execz .LBB36_27
; %bb.24:
	v_add_u32_e32 v10, 0xffffff80, v20
	ds_read_b32 v10, v10
	s_waitcnt lgkmcnt(0)
	v_cmp_eq_u32_e32 vcc, v9, v10
	s_and_saveexec_b64 s[14:15], vcc
	s_cbranch_execz .LBB36_26
; %bb.25:
	v_add_u32_e32 v10, 0xfffffe00, v21
	ds_read_b128 v[16:19], v10
	s_waitcnt lgkmcnt(0)
	v_add_f64 v[5:6], v[5:6], v[16:17]
	v_add_f64 v[7:8], v[7:8], v[18:19]
.LBB36_26:
	s_or_b64 exec, exec, s[14:15]
.LBB36_27:
	s_or_b64 exec, exec, s[12:13]
	v_cmp_lt_u32_e64 s[12:13], 63, v0
	s_barrier
	ds_write_b128 v21, v[5:8]
	s_waitcnt lgkmcnt(0)
	s_barrier
	s_and_saveexec_b64 s[14:15], s[12:13]
	s_cbranch_execz .LBB36_31
; %bb.28:
	v_add_u32_e32 v10, 0xffffff00, v20
	ds_read_b32 v10, v10
	s_waitcnt lgkmcnt(0)
	v_cmp_eq_u32_e32 vcc, v9, v10
	s_and_saveexec_b64 s[16:17], vcc
	s_cbranch_execz .LBB36_30
; %bb.29:
	v_add_u32_e32 v10, 0xfffffc00, v21
	ds_read_b128 v[16:19], v10
	s_waitcnt lgkmcnt(0)
	v_add_f64 v[5:6], v[5:6], v[16:17]
	v_add_f64 v[7:8], v[7:8], v[18:19]
.LBB36_30:
	s_or_b64 exec, exec, s[16:17]
.LBB36_31:
	s_or_b64 exec, exec, s[14:15]
	s_load_dwordx2 s[22:23], s[4:5], 0x38
	s_movk_i32 s4, 0x7f
	v_cmp_lt_u32_e64 s[14:15], s4, v0
	s_waitcnt lgkmcnt(0)
	s_barrier
	ds_write_b128 v21, v[5:8]
	s_waitcnt lgkmcnt(0)
	s_barrier
	s_and_saveexec_b64 s[4:5], s[14:15]
	s_cbranch_execz .LBB36_35
; %bb.32:
	v_add_u32_e32 v10, 0xfffffe00, v20
	ds_read_b32 v10, v10
	s_waitcnt lgkmcnt(0)
	v_cmp_eq_u32_e32 vcc, v9, v10
	s_and_saveexec_b64 s[16:17], vcc
	s_cbranch_execz .LBB36_34
; %bb.33:
	v_add_u32_e32 v10, 0xfffff800, v21
	ds_read_b128 v[16:19], v10
	s_waitcnt lgkmcnt(0)
	v_add_f64 v[5:6], v[5:6], v[16:17]
	v_add_f64 v[7:8], v[7:8], v[18:19]
.LBB36_34:
	s_or_b64 exec, exec, s[16:17]
.LBB36_35:
	s_or_b64 exec, exec, s[4:5]
	s_movk_i32 s4, 0xff
	v_cmp_gt_u32_e64 s[16:17], s4, v0
	s_barrier
	ds_write_b128 v21, v[5:8]
	s_waitcnt lgkmcnt(0)
	s_barrier
	s_and_saveexec_b64 s[38:39], s[16:17]
	s_cbranch_execz .LBB36_41
; %bb.36:
	ds_read_b32 v10, v20 offset:4
	v_cmp_lt_i32_e64 s[4:5], -1, v9
	s_waitcnt lgkmcnt(0)
	v_cmp_ne_u32_e32 vcc, v9, v10
	s_and_b64 s[4:5], s[4:5], vcc
	s_and_b64 exec, exec, s[4:5]
	s_cbranch_execz .LBB36_41
; %bb.37:
	v_mov_b32_e32 v10, 0
	v_lshlrev_b64 v[9:10], 4, v[9:10]
	v_mov_b32_e32 v11, s23
	v_add_co_u32_e32 v16, vcc, s22, v9
	v_addc_co_u32_e32 v17, vcc, v11, v10, vcc
	global_load_dwordx2 v[11:12], v[16:17], off
	v_mul_f64 v[9:10], v[7:8], -v[3:4]
	s_mov_b64 s[4:5], 0
	v_fma_f64 v[18:19], v[1:2], v[5:6], v[9:10]
.LBB36_38:                              ; =>This Inner Loop Header: Depth=1
	s_waitcnt vmcnt(0)
	v_add_f64 v[9:10], v[11:12], v[18:19]
	global_atomic_cmpswap_x2 v[9:10], v[16:17], v[9:12], off glc
	s_waitcnt vmcnt(0)
	v_cmp_eq_u64_e32 vcc, v[9:10], v[11:12]
	v_mov_b32_e32 v12, v10
	s_or_b64 s[4:5], vcc, s[4:5]
	v_mov_b32_e32 v11, v9
	s_andn2_b64 exec, exec, s[4:5]
	s_cbranch_execnz .LBB36_38
; %bb.39:
	s_or_b64 exec, exec, s[4:5]
	global_load_dwordx2 v[9:10], v[16:17], off offset:8
	v_mul_f64 v[7:8], v[1:2], v[7:8]
	s_mov_b64 s[4:5], 0
	v_fma_f64 v[5:6], v[3:4], v[5:6], v[7:8]
.LBB36_40:                              ; =>This Inner Loop Header: Depth=1
	s_waitcnt vmcnt(0)
	v_add_f64 v[7:8], v[9:10], v[5:6]
	global_atomic_cmpswap_x2 v[7:8], v[16:17], v[7:10], off offset:8 glc
	s_waitcnt vmcnt(0)
	v_cmp_eq_u64_e32 vcc, v[7:8], v[9:10]
	v_mov_b32_e32 v10, v8
	s_or_b64 s[4:5], vcc, s[4:5]
	v_mov_b32_e32 v9, v7
	s_andn2_b64 exec, exec, s[4:5]
	s_cbranch_execnz .LBB36_40
.LBB36_41:
	s_or_b64 exec, exec, s[38:39]
	v_add_co_u32_e32 v9, vcc, 0x100, v15
	v_addc_co_u32_e64 v10, s[4:5], 0, 0, vcc
	v_cmp_gt_i64_e32 vcc, s[36:37], v[9:10]
	v_mov_b32_e32 v5, 0
	v_mov_b32_e32 v7, 0
	;; [unrolled: 1-line block ×4, first 2 shown]
	v_mov_b32_e32 v17, -1
	s_and_saveexec_b64 s[4:5], vcc
	s_cbranch_execz .LBB36_43
; %bb.42:
	v_mov_b32_e32 v6, s27
	v_add_co_u32_e32 v5, vcc, s26, v13
	v_addc_co_u32_e32 v6, vcc, v6, v14, vcc
	global_load_dword v11, v[5:6], off offset:1024 glc slc
	v_lshlrev_b64 v[5:6], 4, v[9:10]
	v_mov_b32_e32 v7, s29
	v_add_co_u32_e32 v5, vcc, s28, v5
	v_addc_co_u32_e32 v6, vcc, v7, v6, vcc
	v_mov_b32_e32 v12, s31
	global_load_dwordx4 v[5:8], v[5:6], off glc slc
	v_mov_b32_e32 v15, s25
	s_waitcnt vmcnt(1)
	v_subrev_u32_e32 v9, s34, v11
	v_ashrrev_i32_e32 v10, 31, v9
	v_lshlrev_b64 v[9:10], 4, v[9:10]
	v_add_co_u32_e32 v9, vcc, s30, v9
	v_addc_co_u32_e32 v10, vcc, v12, v10, vcc
	global_load_dwordx4 v[9:12], v[9:10], off
	v_add_co_u32_e32 v13, vcc, s24, v13
	v_addc_co_u32_e32 v14, vcc, v15, v14, vcc
	global_load_dword v15, v[13:14], off offset:1024 glc slc
	s_waitcnt vmcnt(1)
	v_mul_f64 v[13:14], v[11:12], -v[7:8]
	v_mul_f64 v[11:12], v[5:6], v[11:12]
	s_waitcnt vmcnt(0)
	v_subrev_u32_e32 v17, s34, v15
	v_fma_f64 v[5:6], v[5:6], v[9:10], v[13:14]
	v_fma_f64 v[7:8], v[7:8], v[9:10], v[11:12]
.LBB36_43:
	s_or_b64 exec, exec, s[4:5]
	s_and_saveexec_b64 s[4:5], s[18:19]
	s_cbranch_execz .LBB36_62
; %bb.44:
	v_mov_b32_e32 v9, 0
	ds_read_b32 v9, v9 offset:5116
	s_waitcnt lgkmcnt(0)
	v_readfirstlane_b32 s24, v9
	v_cmp_ne_u32_e32 vcc, v17, v9
	s_and_saveexec_b64 s[18:19], vcc
	s_xor_b64 s[18:19], exec, s[18:19]
	s_cbranch_execz .LBB36_59
; %bb.45:
	s_cmp_lt_i32 s24, 0
	s_cbranch_scc1 .LBB36_59
; %bb.46:
	v_mov_b32_e32 v9, 0
	ds_read_b128 v[9:12], v9 offset:4080
	v_mov_b32_e32 v18, 0
	s_mov_b64 s[26:27], exec
	v_bfrev_b32_e32 v19, 1
	s_waitcnt lgkmcnt(0)
	v_mul_f64 v[13:14], v[11:12], -v[3:4]
	v_fma_f64 v[13:14], v[1:2], v[9:10], v[13:14]
.LBB36_47:                              ; =>This Inner Loop Header: Depth=1
	s_ff1_i32_b64 s25, s[26:27]
	v_readlane_b32 s29, v14, s25
	v_readlane_b32 s28, v13, s25
	v_add_f64 v[18:19], v[18:19], s[28:29]
	s_lshl_b64 s[28:29], 1, s25
	s_andn2_b64 s[26:27], s[26:27], s[28:29]
	s_cmp_lg_u64 s[26:27], 0
	s_cbranch_scc1 .LBB36_47
; %bb.48:
	s_mov_b32 s25, 0
	s_lshl_b64 s[24:25], s[24:25], 4
	v_mbcnt_lo_u32_b32 v13, exec_lo, 0
	s_add_u32 s24, s22, s24
	v_mbcnt_hi_u32_b32 v13, exec_hi, v13
	s_addc_u32 s25, s23, s25
	v_cmp_eq_u32_e32 vcc, 0, v13
	s_and_saveexec_b64 s[26:27], vcc
	s_xor_b64 s[26:27], exec, s[26:27]
	s_cbranch_execz .LBB36_52
; %bb.49:
	v_mov_b32_e32 v27, 0
	global_load_dwordx2 v[15:16], v27, s[24:25]
	s_mov_b64 s[28:29], 0
.LBB36_50:                              ; =>This Inner Loop Header: Depth=1
	s_waitcnt vmcnt(0)
	v_add_f64 v[13:14], v[15:16], v[18:19]
	global_atomic_cmpswap_x2 v[13:14], v27, v[13:16], s[24:25] glc
	s_waitcnt vmcnt(0)
	v_cmp_eq_u64_e32 vcc, v[13:14], v[15:16]
	v_mov_b32_e32 v16, v14
	s_or_b64 s[28:29], vcc, s[28:29]
	v_mov_b32_e32 v15, v13
	s_andn2_b64 exec, exec, s[28:29]
	s_cbranch_execnz .LBB36_50
; %bb.51:
	s_or_b64 exec, exec, s[28:29]
.LBB36_52:
	s_or_b64 exec, exec, s[26:27]
	v_mul_f64 v[11:12], v[1:2], v[11:12]
	v_mov_b32_e32 v13, 0
	s_mov_b64 s[26:27], exec
	v_bfrev_b32_e32 v14, 1
	v_fma_f64 v[9:10], v[3:4], v[9:10], v[11:12]
.LBB36_53:                              ; =>This Inner Loop Header: Depth=1
	s_ff1_i32_b64 s30, s[26:27]
	v_readlane_b32 s29, v10, s30
	v_readlane_b32 s28, v9, s30
	v_add_f64 v[13:14], v[13:14], s[28:29]
	s_lshl_b64 s[28:29], 1, s30
	s_andn2_b64 s[26:27], s[26:27], s[28:29]
	s_cmp_lg_u64 s[26:27], 0
	s_cbranch_scc1 .LBB36_53
; %bb.54:
	v_mbcnt_lo_u32_b32 v9, exec_lo, 0
	v_mbcnt_hi_u32_b32 v9, exec_hi, v9
	v_cmp_eq_u32_e32 vcc, 0, v9
	s_and_saveexec_b64 s[26:27], vcc
	s_xor_b64 s[26:27], exec, s[26:27]
	s_cbranch_execz .LBB36_58
; %bb.55:
	v_mov_b32_e32 v15, 0
	global_load_dwordx2 v[11:12], v15, s[24:25] offset:8
	s_mov_b64 s[28:29], 0
.LBB36_56:                              ; =>This Inner Loop Header: Depth=1
	s_waitcnt vmcnt(0)
	v_add_f64 v[9:10], v[11:12], v[13:14]
	global_atomic_cmpswap_x2 v[9:10], v15, v[9:12], s[24:25] offset:8 glc
	s_waitcnt vmcnt(0)
	v_cmp_eq_u64_e32 vcc, v[9:10], v[11:12]
	v_mov_b32_e32 v12, v10
	s_or_b64 s[28:29], vcc, s[28:29]
	v_mov_b32_e32 v11, v9
	s_andn2_b64 exec, exec, s[28:29]
	s_cbranch_execnz .LBB36_56
; %bb.57:
	s_or_b64 exec, exec, s[28:29]
.LBB36_58:
	s_or_b64 exec, exec, s[26:27]
.LBB36_59:
	s_andn2_saveexec_b64 s[18:19], s[18:19]
	s_cbranch_execz .LBB36_61
; %bb.60:
	v_mov_b32_e32 v9, 0
	ds_read_b128 v[9:12], v9 offset:4080
	s_waitcnt lgkmcnt(0)
	v_add_f64 v[5:6], v[5:6], v[9:10]
	v_add_f64 v[7:8], v[7:8], v[11:12]
.LBB36_61:
	s_or_b64 exec, exec, s[18:19]
.LBB36_62:
	s_or_b64 exec, exec, s[4:5]
	s_barrier
	ds_write_b32 v20, v17
	ds_write_b128 v21, v[5:8]
	s_waitcnt lgkmcnt(0)
	s_barrier
	s_and_saveexec_b64 s[4:5], s[0:1]
	s_cbranch_execz .LBB36_66
; %bb.63:
	ds_read_b32 v9, v22
	s_waitcnt lgkmcnt(0)
	v_cmp_eq_u32_e32 vcc, v17, v9
	s_and_saveexec_b64 s[0:1], vcc
	s_cbranch_execz .LBB36_65
; %bb.64:
	v_add_u32_e32 v9, -16, v21
	ds_read_b128 v[9:12], v9
	s_waitcnt lgkmcnt(0)
	v_add_f64 v[5:6], v[5:6], v[9:10]
	v_add_f64 v[7:8], v[7:8], v[11:12]
.LBB36_65:
	s_or_b64 exec, exec, s[0:1]
.LBB36_66:
	s_or_b64 exec, exec, s[4:5]
	s_barrier
	ds_write_b128 v21, v[5:8]
	s_waitcnt lgkmcnt(0)
	s_barrier
	s_and_saveexec_b64 s[0:1], s[2:3]
	s_cbranch_execz .LBB36_70
; %bb.67:
	ds_read_b32 v9, v23
	s_waitcnt lgkmcnt(0)
	v_cmp_eq_u32_e32 vcc, v17, v9
	s_and_saveexec_b64 s[2:3], vcc
	s_cbranch_execz .LBB36_69
; %bb.68:
	v_subrev_u32_e32 v9, 32, v21
	ds_read_b128 v[9:12], v9
	s_waitcnt lgkmcnt(0)
	v_add_f64 v[5:6], v[5:6], v[9:10]
	v_add_f64 v[7:8], v[7:8], v[11:12]
.LBB36_69:
	s_or_b64 exec, exec, s[2:3]
.LBB36_70:
	s_or_b64 exec, exec, s[0:1]
	s_barrier
	ds_write_b128 v21, v[5:8]
	s_waitcnt lgkmcnt(0)
	s_barrier
	s_and_saveexec_b64 s[0:1], s[20:21]
	s_cbranch_execz .LBB36_74
; %bb.71:
	ds_read_b32 v9, v24
	s_waitcnt lgkmcnt(0)
	v_cmp_eq_u32_e32 vcc, v17, v9
	s_and_saveexec_b64 s[2:3], vcc
	s_cbranch_execz .LBB36_73
; %bb.72:
	v_subrev_u32_e32 v9, 64, v21
	ds_read_b128 v[9:12], v9
	s_waitcnt lgkmcnt(0)
	v_add_f64 v[5:6], v[5:6], v[9:10]
	v_add_f64 v[7:8], v[7:8], v[11:12]
.LBB36_73:
	s_or_b64 exec, exec, s[2:3]
.LBB36_74:
	s_or_b64 exec, exec, s[0:1]
	s_barrier
	ds_write_b128 v21, v[5:8]
	s_waitcnt lgkmcnt(0)
	s_barrier
	s_and_saveexec_b64 s[0:1], s[6:7]
	s_cbranch_execz .LBB36_78
; %bb.75:
	ds_read_b32 v9, v25
	s_waitcnt lgkmcnt(0)
	v_cmp_eq_u32_e32 vcc, v17, v9
	s_and_saveexec_b64 s[2:3], vcc
	s_cbranch_execz .LBB36_77
; %bb.76:
	v_add_u32_e32 v9, 0xffffff80, v21
	ds_read_b128 v[9:12], v9
	s_waitcnt lgkmcnt(0)
	v_add_f64 v[5:6], v[5:6], v[9:10]
	v_add_f64 v[7:8], v[7:8], v[11:12]
.LBB36_77:
	s_or_b64 exec, exec, s[2:3]
.LBB36_78:
	s_or_b64 exec, exec, s[0:1]
	s_barrier
	ds_write_b128 v21, v[5:8]
	s_waitcnt lgkmcnt(0)
	s_barrier
	s_and_saveexec_b64 s[0:1], s[8:9]
	s_cbranch_execz .LBB36_82
; %bb.79:
	ds_read_b32 v9, v26
	s_waitcnt lgkmcnt(0)
	v_cmp_eq_u32_e32 vcc, v17, v9
	s_and_saveexec_b64 s[2:3], vcc
	s_cbranch_execz .LBB36_81
; %bb.80:
	v_add_u32_e32 v9, 0xffffff00, v21
	ds_read_b128 v[9:12], v9
	s_waitcnt lgkmcnt(0)
	v_add_f64 v[5:6], v[5:6], v[9:10]
	v_add_f64 v[7:8], v[7:8], v[11:12]
.LBB36_81:
	s_or_b64 exec, exec, s[2:3]
.LBB36_82:
	s_or_b64 exec, exec, s[0:1]
	s_barrier
	ds_write_b128 v21, v[5:8]
	s_waitcnt lgkmcnt(0)
	s_barrier
	s_and_saveexec_b64 s[0:1], s[10:11]
	s_cbranch_execz .LBB36_86
; %bb.83:
	v_add_u32_e32 v9, 0xffffff80, v20
	ds_read_b32 v9, v9
	s_waitcnt lgkmcnt(0)
	v_cmp_eq_u32_e32 vcc, v17, v9
	s_and_saveexec_b64 s[2:3], vcc
	s_cbranch_execz .LBB36_85
; %bb.84:
	v_add_u32_e32 v9, 0xfffffe00, v21
	ds_read_b128 v[9:12], v9
	s_waitcnt lgkmcnt(0)
	v_add_f64 v[5:6], v[5:6], v[9:10]
	v_add_f64 v[7:8], v[7:8], v[11:12]
.LBB36_85:
	s_or_b64 exec, exec, s[2:3]
.LBB36_86:
	s_or_b64 exec, exec, s[0:1]
	s_barrier
	ds_write_b128 v21, v[5:8]
	s_waitcnt lgkmcnt(0)
	s_barrier
	s_and_saveexec_b64 s[0:1], s[12:13]
	s_cbranch_execz .LBB36_90
; %bb.87:
	v_add_u32_e32 v9, 0xffffff00, v20
	ds_read_b32 v9, v9
	s_waitcnt lgkmcnt(0)
	v_cmp_eq_u32_e32 vcc, v17, v9
	s_and_saveexec_b64 s[2:3], vcc
	s_cbranch_execz .LBB36_89
; %bb.88:
	v_add_u32_e32 v9, 0xfffffc00, v21
	ds_read_b128 v[9:12], v9
	s_waitcnt lgkmcnt(0)
	v_add_f64 v[5:6], v[5:6], v[9:10]
	v_add_f64 v[7:8], v[7:8], v[11:12]
.LBB36_89:
	s_or_b64 exec, exec, s[2:3]
.LBB36_90:
	;; [unrolled: 23-line block ×3, first 2 shown]
	s_or_b64 exec, exec, s[0:1]
	s_barrier
	ds_write_b128 v21, v[5:8]
	s_waitcnt lgkmcnt(0)
	s_barrier
	s_and_saveexec_b64 s[2:3], s[16:17]
	s_cbranch_execz .LBB36_100
; %bb.95:
	ds_read_b32 v9, v20 offset:4
	v_cmp_lt_i32_e64 s[0:1], -1, v17
	s_waitcnt lgkmcnt(0)
	v_cmp_ne_u32_e32 vcc, v17, v9
	s_and_b64 s[0:1], s[0:1], vcc
	s_and_b64 exec, exec, s[0:1]
	s_cbranch_execz .LBB36_100
; %bb.96:
	v_mov_b32_e32 v18, 0
	v_lshlrev_b64 v[9:10], 4, v[17:18]
	v_mov_b32_e32 v11, s23
	v_add_co_u32_e32 v13, vcc, s22, v9
	v_addc_co_u32_e32 v14, vcc, v11, v10, vcc
	global_load_dwordx2 v[11:12], v[13:14], off
	v_mul_f64 v[9:10], v[7:8], -v[3:4]
	s_mov_b64 s[0:1], 0
	v_fma_f64 v[15:16], v[1:2], v[5:6], v[9:10]
.LBB36_97:                              ; =>This Inner Loop Header: Depth=1
	s_waitcnt vmcnt(0)
	v_add_f64 v[9:10], v[11:12], v[15:16]
	global_atomic_cmpswap_x2 v[9:10], v[13:14], v[9:12], off glc
	s_waitcnt vmcnt(0)
	v_cmp_eq_u64_e32 vcc, v[9:10], v[11:12]
	v_mov_b32_e32 v12, v10
	s_or_b64 s[0:1], vcc, s[0:1]
	v_mov_b32_e32 v11, v9
	s_andn2_b64 exec, exec, s[0:1]
	s_cbranch_execnz .LBB36_97
; %bb.98:
	s_or_b64 exec, exec, s[0:1]
	global_load_dwordx2 v[11:12], v[13:14], off offset:8
	v_mul_f64 v[9:10], v[1:2], v[7:8]
	s_mov_b64 s[0:1], 0
	v_fma_f64 v[15:16], v[3:4], v[5:6], v[9:10]
.LBB36_99:                              ; =>This Inner Loop Header: Depth=1
	s_waitcnt vmcnt(0)
	v_add_f64 v[9:10], v[11:12], v[15:16]
	global_atomic_cmpswap_x2 v[9:10], v[13:14], v[9:12], off offset:8 glc
	s_waitcnt vmcnt(0)
	v_cmp_eq_u64_e32 vcc, v[9:10], v[11:12]
	v_mov_b32_e32 v12, v10
	s_or_b64 s[0:1], vcc, s[0:1]
	v_mov_b32_e32 v11, v9
	s_andn2_b64 exec, exec, s[0:1]
	s_cbranch_execnz .LBB36_99
.LBB36_100:
	s_or_b64 exec, exec, s[2:3]
	s_movk_i32 s0, 0xff
	v_cmp_eq_u32_e32 vcc, s0, v0
	v_cmp_lt_i32_e64 s[0:1], -1, v17
	s_and_b64 s[0:1], vcc, s[0:1]
	s_and_b64 exec, exec, s[0:1]
	s_cbranch_execz .LBB36_105
; %bb.101:
	v_mov_b32_e32 v18, 0
	v_lshlrev_b64 v[9:10], 4, v[17:18]
	v_mov_b32_e32 v0, s23
	v_add_co_u32_e32 v13, vcc, s22, v9
	v_addc_co_u32_e32 v14, vcc, v0, v10, vcc
	global_load_dwordx2 v[11:12], v[13:14], off
	v_mul_f64 v[9:10], v[7:8], -v[3:4]
	s_mov_b64 s[0:1], 0
	v_fma_f64 v[15:16], v[1:2], v[5:6], v[9:10]
.LBB36_102:                             ; =>This Inner Loop Header: Depth=1
	s_waitcnt vmcnt(0)
	v_add_f64 v[9:10], v[11:12], v[15:16]
	global_atomic_cmpswap_x2 v[9:10], v[13:14], v[9:12], off glc
	s_waitcnt vmcnt(0)
	v_cmp_eq_u64_e32 vcc, v[9:10], v[11:12]
	v_mov_b32_e32 v12, v10
	s_or_b64 s[0:1], vcc, s[0:1]
	v_mov_b32_e32 v11, v9
	s_andn2_b64 exec, exec, s[0:1]
	s_cbranch_execnz .LBB36_102
; %bb.103:
	s_or_b64 exec, exec, s[0:1]
	global_load_dwordx2 v[9:10], v[13:14], off offset:8
	v_mul_f64 v[0:1], v[1:2], v[7:8]
	s_mov_b64 s[0:1], 0
	v_fma_f64 v[0:1], v[3:4], v[5:6], v[0:1]
.LBB36_104:                             ; =>This Inner Loop Header: Depth=1
	s_waitcnt vmcnt(0)
	v_add_f64 v[7:8], v[9:10], v[0:1]
	global_atomic_cmpswap_x2 v[2:3], v[13:14], v[7:10], off offset:8 glc
	s_waitcnt vmcnt(0)
	v_cmp_eq_u64_e32 vcc, v[2:3], v[9:10]
	v_mov_b32_e32 v10, v3
	s_or_b64 s[0:1], vcc, s[0:1]
	v_mov_b32_e32 v9, v2
	s_andn2_b64 exec, exec, s[0:1]
	s_cbranch_execnz .LBB36_104
.LBB36_105:
	s_endpgm
	.section	.rodata,"a",@progbits
	.p2align	6, 0x0
	.amdhsa_kernel _ZN9rocsparseL19coomvn_atomic_loopsILj256ELj2Ei21rocsparse_complex_numIdES2_S2_S2_EEvlNS_24const_host_device_scalarIT5_EEPKT1_S8_PKT2_PKT3_PT4_21rocsparse_index_base_b
		.amdhsa_group_segment_fixed_size 5120
		.amdhsa_private_segment_fixed_size 0
		.amdhsa_kernarg_size 72
		.amdhsa_user_sgpr_count 6
		.amdhsa_user_sgpr_private_segment_buffer 1
		.amdhsa_user_sgpr_dispatch_ptr 0
		.amdhsa_user_sgpr_queue_ptr 0
		.amdhsa_user_sgpr_kernarg_segment_ptr 1
		.amdhsa_user_sgpr_dispatch_id 0
		.amdhsa_user_sgpr_flat_scratch_init 0
		.amdhsa_user_sgpr_private_segment_size 0
		.amdhsa_uses_dynamic_stack 0
		.amdhsa_system_sgpr_private_segment_wavefront_offset 0
		.amdhsa_system_sgpr_workgroup_id_x 1
		.amdhsa_system_sgpr_workgroup_id_y 0
		.amdhsa_system_sgpr_workgroup_id_z 0
		.amdhsa_system_sgpr_workgroup_info 0
		.amdhsa_system_vgpr_workitem_id 0
		.amdhsa_next_free_vgpr 28
		.amdhsa_next_free_sgpr 40
		.amdhsa_reserve_vcc 1
		.amdhsa_reserve_flat_scratch 0
		.amdhsa_float_round_mode_32 0
		.amdhsa_float_round_mode_16_64 0
		.amdhsa_float_denorm_mode_32 3
		.amdhsa_float_denorm_mode_16_64 3
		.amdhsa_dx10_clamp 1
		.amdhsa_ieee_mode 1
		.amdhsa_fp16_overflow 0
		.amdhsa_exception_fp_ieee_invalid_op 0
		.amdhsa_exception_fp_denorm_src 0
		.amdhsa_exception_fp_ieee_div_zero 0
		.amdhsa_exception_fp_ieee_overflow 0
		.amdhsa_exception_fp_ieee_underflow 0
		.amdhsa_exception_fp_ieee_inexact 0
		.amdhsa_exception_int_div_zero 0
	.end_amdhsa_kernel
	.section	.text._ZN9rocsparseL19coomvn_atomic_loopsILj256ELj2Ei21rocsparse_complex_numIdES2_S2_S2_EEvlNS_24const_host_device_scalarIT5_EEPKT1_S8_PKT2_PKT3_PT4_21rocsparse_index_base_b,"axG",@progbits,_ZN9rocsparseL19coomvn_atomic_loopsILj256ELj2Ei21rocsparse_complex_numIdES2_S2_S2_EEvlNS_24const_host_device_scalarIT5_EEPKT1_S8_PKT2_PKT3_PT4_21rocsparse_index_base_b,comdat
.Lfunc_end36:
	.size	_ZN9rocsparseL19coomvn_atomic_loopsILj256ELj2Ei21rocsparse_complex_numIdES2_S2_S2_EEvlNS_24const_host_device_scalarIT5_EEPKT1_S8_PKT2_PKT3_PT4_21rocsparse_index_base_b, .Lfunc_end36-_ZN9rocsparseL19coomvn_atomic_loopsILj256ELj2Ei21rocsparse_complex_numIdES2_S2_S2_EEvlNS_24const_host_device_scalarIT5_EEPKT1_S8_PKT2_PKT3_PT4_21rocsparse_index_base_b
                                        ; -- End function
	.set _ZN9rocsparseL19coomvn_atomic_loopsILj256ELj2Ei21rocsparse_complex_numIdES2_S2_S2_EEvlNS_24const_host_device_scalarIT5_EEPKT1_S8_PKT2_PKT3_PT4_21rocsparse_index_base_b.num_vgpr, 28
	.set _ZN9rocsparseL19coomvn_atomic_loopsILj256ELj2Ei21rocsparse_complex_numIdES2_S2_S2_EEvlNS_24const_host_device_scalarIT5_EEPKT1_S8_PKT2_PKT3_PT4_21rocsparse_index_base_b.num_agpr, 0
	.set _ZN9rocsparseL19coomvn_atomic_loopsILj256ELj2Ei21rocsparse_complex_numIdES2_S2_S2_EEvlNS_24const_host_device_scalarIT5_EEPKT1_S8_PKT2_PKT3_PT4_21rocsparse_index_base_b.numbered_sgpr, 40
	.set _ZN9rocsparseL19coomvn_atomic_loopsILj256ELj2Ei21rocsparse_complex_numIdES2_S2_S2_EEvlNS_24const_host_device_scalarIT5_EEPKT1_S8_PKT2_PKT3_PT4_21rocsparse_index_base_b.num_named_barrier, 0
	.set _ZN9rocsparseL19coomvn_atomic_loopsILj256ELj2Ei21rocsparse_complex_numIdES2_S2_S2_EEvlNS_24const_host_device_scalarIT5_EEPKT1_S8_PKT2_PKT3_PT4_21rocsparse_index_base_b.private_seg_size, 0
	.set _ZN9rocsparseL19coomvn_atomic_loopsILj256ELj2Ei21rocsparse_complex_numIdES2_S2_S2_EEvlNS_24const_host_device_scalarIT5_EEPKT1_S8_PKT2_PKT3_PT4_21rocsparse_index_base_b.uses_vcc, 1
	.set _ZN9rocsparseL19coomvn_atomic_loopsILj256ELj2Ei21rocsparse_complex_numIdES2_S2_S2_EEvlNS_24const_host_device_scalarIT5_EEPKT1_S8_PKT2_PKT3_PT4_21rocsparse_index_base_b.uses_flat_scratch, 0
	.set _ZN9rocsparseL19coomvn_atomic_loopsILj256ELj2Ei21rocsparse_complex_numIdES2_S2_S2_EEvlNS_24const_host_device_scalarIT5_EEPKT1_S8_PKT2_PKT3_PT4_21rocsparse_index_base_b.has_dyn_sized_stack, 0
	.set _ZN9rocsparseL19coomvn_atomic_loopsILj256ELj2Ei21rocsparse_complex_numIdES2_S2_S2_EEvlNS_24const_host_device_scalarIT5_EEPKT1_S8_PKT2_PKT3_PT4_21rocsparse_index_base_b.has_recursion, 0
	.set _ZN9rocsparseL19coomvn_atomic_loopsILj256ELj2Ei21rocsparse_complex_numIdES2_S2_S2_EEvlNS_24const_host_device_scalarIT5_EEPKT1_S8_PKT2_PKT3_PT4_21rocsparse_index_base_b.has_indirect_call, 0
	.section	.AMDGPU.csdata,"",@progbits
; Kernel info:
; codeLenInByte = 3404
; TotalNumSgprs: 44
; NumVgprs: 28
; ScratchSize: 0
; MemoryBound: 0
; FloatMode: 240
; IeeeMode: 1
; LDSByteSize: 5120 bytes/workgroup (compile time only)
; SGPRBlocks: 5
; VGPRBlocks: 6
; NumSGPRsForWavesPerEU: 44
; NumVGPRsForWavesPerEU: 28
; Occupancy: 9
; WaveLimiterHint : 1
; COMPUTE_PGM_RSRC2:SCRATCH_EN: 0
; COMPUTE_PGM_RSRC2:USER_SGPR: 6
; COMPUTE_PGM_RSRC2:TRAP_HANDLER: 0
; COMPUTE_PGM_RSRC2:TGID_X_EN: 1
; COMPUTE_PGM_RSRC2:TGID_Y_EN: 0
; COMPUTE_PGM_RSRC2:TGID_Z_EN: 0
; COMPUTE_PGM_RSRC2:TIDIG_COMP_CNT: 0
	.section	.text._ZN9rocsparseL22coomvn_segmented_loopsILj256El21rocsparse_complex_numIdES2_S2_S2_EEvlT0_NS_24const_host_device_scalarIT4_EEPKS3_S8_PKT1_PKT2_PT3_PS3_PS5_21rocsparse_index_base_b,"axG",@progbits,_ZN9rocsparseL22coomvn_segmented_loopsILj256El21rocsparse_complex_numIdES2_S2_S2_EEvlT0_NS_24const_host_device_scalarIT4_EEPKS3_S8_PKT1_PKT2_PT3_PS3_PS5_21rocsparse_index_base_b,comdat
	.globl	_ZN9rocsparseL22coomvn_segmented_loopsILj256El21rocsparse_complex_numIdES2_S2_S2_EEvlT0_NS_24const_host_device_scalarIT4_EEPKS3_S8_PKT1_PKT2_PT3_PS3_PS5_21rocsparse_index_base_b ; -- Begin function _ZN9rocsparseL22coomvn_segmented_loopsILj256El21rocsparse_complex_numIdES2_S2_S2_EEvlT0_NS_24const_host_device_scalarIT4_EEPKS3_S8_PKT1_PKT2_PT3_PS3_PS5_21rocsparse_index_base_b
	.p2align	8
	.type	_ZN9rocsparseL22coomvn_segmented_loopsILj256El21rocsparse_complex_numIdES2_S2_S2_EEvlT0_NS_24const_host_device_scalarIT4_EEPKS3_S8_PKT1_PKT2_PT3_PS3_PS5_21rocsparse_index_base_b,@function
_ZN9rocsparseL22coomvn_segmented_loopsILj256El21rocsparse_complex_numIdES2_S2_S2_EEvlT0_NS_24const_host_device_scalarIT4_EEPKS3_S8_PKT1_PKT2_PT3_PS3_PS5_21rocsparse_index_base_b: ; @_ZN9rocsparseL22coomvn_segmented_loopsILj256El21rocsparse_complex_numIdES2_S2_S2_EEvlT0_NS_24const_host_device_scalarIT4_EEPKS3_S8_PKT1_PKT2_PT3_PS3_PS5_21rocsparse_index_base_b
; %bb.0:
	s_load_dwordx2 s[34:35], s[4:5], 0x58
	s_load_dwordx2 s[0:1], s[4:5], 0x10
	s_add_u32 s2, s4, 16
	s_addc_u32 s3, s5, 0
	s_waitcnt lgkmcnt(0)
	s_bitcmp1_b32 s35, 0
	s_cselect_b32 s1, s3, s1
	s_cselect_b32 s0, s2, s0
	v_mov_b32_e32 v1, s0
	v_mov_b32_e32 v2, s1
	flat_load_dwordx4 v[1:4], v[1:2]
	s_waitcnt vmcnt(0) lgkmcnt(0)
	v_cmp_neq_f64_e32 vcc, 0, v[1:2]
	v_cmp_neq_f64_e64 s[0:1], 0, v[3:4]
	s_or_b64 s[0:1], vcc, s[0:1]
	s_and_saveexec_b64 s[2:3], s[0:1]
	s_cbranch_execz .LBB37_87
; %bb.1:
	s_load_dwordx4 s[28:31], s[4:5], 0x0
	s_load_dwordx8 s[36:43], s[4:5], 0x20
	v_mov_b32_e32 v5, 0
	v_mov_b32_e32 v6, 0
	v_mov_b32_e32 v9, -1
	s_waitcnt lgkmcnt(0)
	s_mul_i32 s1, s6, s31
	s_mul_hi_u32 s2, s6, s30
	s_mul_i32 s0, s6, s30
	s_add_i32 s1, s2, s1
	s_lshl_b64 s[0:1], s[0:1], 8
	v_or_b32_e32 v16, s0, v0
	v_mov_b32_e32 v17, s1
	v_cmp_gt_i64_e32 vcc, s[28:29], v[16:17]
	v_mov_b32_e32 v8, v6
	s_mov_b32 s7, 0
	v_mov_b32_e32 v10, -1
	v_mov_b32_e32 v7, v5
	s_and_saveexec_b64 s[0:1], vcc
	s_cbranch_execz .LBB37_3
; %bb.2:
	v_lshlrev_b64 v[13:14], 3, v[16:17]
	v_mov_b32_e32 v6, s39
	v_add_co_u32_e32 v5, vcc, s38, v13
	v_addc_co_u32_e32 v6, vcc, v6, v14, vcc
	global_load_dwordx2 v[9:10], v[5:6], off glc slc
	v_lshlrev_b64 v[5:6], 4, v[16:17]
	v_mov_b32_e32 v7, s41
	v_add_co_u32_e32 v5, vcc, s40, v5
	v_addc_co_u32_e32 v6, vcc, v7, v6, vcc
	v_mov_b32_e32 v11, s43
	s_ashr_i32 s35, s34, 31
	s_lshl_b64 s[2:3], s[34:35], 4
	v_mov_b32_e32 v12, s3
	global_load_dwordx4 v[5:8], v[5:6], off glc slc
	v_mov_b32_e32 v15, s37
	s_waitcnt vmcnt(1)
	v_lshlrev_b64 v[9:10], 4, v[9:10]
	v_add_co_u32_e32 v9, vcc, s42, v9
	v_addc_co_u32_e32 v10, vcc, v11, v10, vcc
	v_subrev_co_u32_e32 v9, vcc, s2, v9
	v_subb_co_u32_e32 v10, vcc, v10, v12, vcc
	global_load_dwordx4 v[9:12], v[9:10], off
	v_add_co_u32_e32 v13, vcc, s36, v13
	v_addc_co_u32_e32 v14, vcc, v15, v14, vcc
	global_load_dwordx2 v[13:14], v[13:14], off glc slc
	s_waitcnt vmcnt(1)
	v_mul_f64 v[18:19], v[11:12], -v[7:8]
	v_mul_f64 v[11:12], v[5:6], v[11:12]
	v_fma_f64 v[5:6], v[5:6], v[9:10], v[18:19]
	v_fma_f64 v[7:8], v[7:8], v[9:10], v[11:12]
	s_waitcnt vmcnt(0)
	v_subrev_co_u32_e32 v9, vcc, s34, v13
	v_subbrev_co_u32_e32 v10, vcc, 0, v14, vcc
.LBB37_3:
	s_or_b64 exec, exec, s[0:1]
	v_lshlrev_b32_e32 v11, 3, v0
	v_or_b32_e32 v22, 0x1000, v11
	v_lshlrev_b32_e32 v23, 4, v0
	v_cmp_eq_u32_e64 s[0:1], 0, v0
	v_cmp_ne_u32_e64 s[2:3], 0, v0
	v_add_u32_e32 v24, -8, v22
	ds_write_b64 v11, v[9:10] offset:4096
	ds_write_b128 v23, v[5:8]
	s_waitcnt lgkmcnt(0)
	s_barrier
	s_and_saveexec_b64 s[8:9], s[2:3]
	s_cbranch_execz .LBB37_7
; %bb.4:
	ds_read_b64 v[11:12], v24
	s_waitcnt lgkmcnt(0)
	v_cmp_eq_u64_e32 vcc, v[9:10], v[11:12]
	s_and_saveexec_b64 s[10:11], vcc
	s_cbranch_execz .LBB37_6
; %bb.5:
	v_add_u32_e32 v11, -16, v23
	ds_read_b128 v[11:14], v11
	s_waitcnt lgkmcnt(0)
	v_add_f64 v[5:6], v[5:6], v[11:12]
	v_add_f64 v[7:8], v[7:8], v[13:14]
.LBB37_6:
	s_or_b64 exec, exec, s[10:11]
.LBB37_7:
	s_or_b64 exec, exec, s[8:9]
	v_cmp_lt_u32_e64 s[22:23], 1, v0
	v_add_u32_e32 v25, -16, v22
	s_barrier
	ds_write_b128 v23, v[5:8]
	s_waitcnt lgkmcnt(0)
	s_barrier
	s_and_saveexec_b64 s[8:9], s[22:23]
	s_cbranch_execz .LBB37_11
; %bb.8:
	ds_read_b64 v[11:12], v25
	s_waitcnt lgkmcnt(0)
	v_cmp_eq_u64_e32 vcc, v[9:10], v[11:12]
	s_and_saveexec_b64 s[10:11], vcc
	s_cbranch_execz .LBB37_10
; %bb.9:
	v_subrev_u32_e32 v11, 32, v23
	ds_read_b128 v[11:14], v11
	s_waitcnt lgkmcnt(0)
	v_add_f64 v[5:6], v[5:6], v[11:12]
	v_add_f64 v[7:8], v[7:8], v[13:14]
.LBB37_10:
	s_or_b64 exec, exec, s[10:11]
.LBB37_11:
	s_or_b64 exec, exec, s[8:9]
	v_cmp_lt_u32_e64 s[8:9], 3, v0
	v_subrev_u32_e32 v26, 32, v22
	s_barrier
	ds_write_b128 v23, v[5:8]
	s_waitcnt lgkmcnt(0)
	s_barrier
	s_and_saveexec_b64 s[10:11], s[8:9]
	s_cbranch_execz .LBB37_15
; %bb.12:
	ds_read_b64 v[11:12], v26
	s_waitcnt lgkmcnt(0)
	v_cmp_eq_u64_e32 vcc, v[9:10], v[11:12]
	s_and_saveexec_b64 s[12:13], vcc
	s_cbranch_execz .LBB37_14
; %bb.13:
	v_subrev_u32_e32 v11, 64, v23
	ds_read_b128 v[11:14], v11
	s_waitcnt lgkmcnt(0)
	v_add_f64 v[5:6], v[5:6], v[11:12]
	v_add_f64 v[7:8], v[7:8], v[13:14]
.LBB37_14:
	s_or_b64 exec, exec, s[12:13]
.LBB37_15:
	s_or_b64 exec, exec, s[10:11]
	v_cmp_lt_u32_e64 s[10:11], 7, v0
	v_subrev_u32_e32 v27, 64, v22
	s_barrier
	ds_write_b128 v23, v[5:8]
	s_waitcnt lgkmcnt(0)
	s_barrier
	s_and_saveexec_b64 s[12:13], s[10:11]
	s_cbranch_execz .LBB37_19
; %bb.16:
	ds_read_b64 v[11:12], v27
	s_waitcnt lgkmcnt(0)
	v_cmp_eq_u64_e32 vcc, v[9:10], v[11:12]
	s_and_saveexec_b64 s[14:15], vcc
	s_cbranch_execz .LBB37_18
; %bb.17:
	v_add_u32_e32 v11, 0xffffff80, v23
	ds_read_b128 v[11:14], v11
	s_waitcnt lgkmcnt(0)
	v_add_f64 v[5:6], v[5:6], v[11:12]
	v_add_f64 v[7:8], v[7:8], v[13:14]
.LBB37_18:
	s_or_b64 exec, exec, s[14:15]
.LBB37_19:
	s_or_b64 exec, exec, s[12:13]
	v_cmp_lt_u32_e64 s[12:13], 15, v0
	s_barrier
	ds_write_b128 v23, v[5:8]
	s_waitcnt lgkmcnt(0)
	s_barrier
	s_and_saveexec_b64 s[14:15], s[12:13]
	s_cbranch_execz .LBB37_23
; %bb.20:
	v_add_u32_e32 v11, 0xffffff80, v22
	ds_read_b64 v[11:12], v11
	s_waitcnt lgkmcnt(0)
	v_cmp_eq_u64_e32 vcc, v[9:10], v[11:12]
	s_and_saveexec_b64 s[16:17], vcc
	s_cbranch_execz .LBB37_22
; %bb.21:
	v_add_u32_e32 v11, 0xffffff00, v23
	ds_read_b128 v[11:14], v11
	s_waitcnt lgkmcnt(0)
	v_add_f64 v[5:6], v[5:6], v[11:12]
	v_add_f64 v[7:8], v[7:8], v[13:14]
.LBB37_22:
	s_or_b64 exec, exec, s[16:17]
.LBB37_23:
	s_or_b64 exec, exec, s[14:15]
	v_cmp_lt_u32_e64 s[14:15], 31, v0
	s_barrier
	ds_write_b128 v23, v[5:8]
	s_waitcnt lgkmcnt(0)
	s_barrier
	s_and_saveexec_b64 s[16:17], s[14:15]
	s_cbranch_execz .LBB37_27
; %bb.24:
	v_add_u32_e32 v11, 0xffffff00, v22
	ds_read_b64 v[11:12], v11
	s_waitcnt lgkmcnt(0)
	v_cmp_eq_u64_e32 vcc, v[9:10], v[11:12]
	s_and_saveexec_b64 s[18:19], vcc
	s_cbranch_execz .LBB37_26
; %bb.25:
	v_add_u32_e32 v11, 0xfffffe00, v23
	ds_read_b128 v[11:14], v11
	s_waitcnt lgkmcnt(0)
	v_add_f64 v[5:6], v[5:6], v[11:12]
	v_add_f64 v[7:8], v[7:8], v[13:14]
.LBB37_26:
	s_or_b64 exec, exec, s[18:19]
.LBB37_27:
	;; [unrolled: 24-line block ×3, first 2 shown]
	s_or_b64 exec, exec, s[18:19]
	s_load_dwordx2 s[44:45], s[4:5], 0x40
	s_movk_i32 s18, 0x7f
	v_cmp_lt_u32_e64 s[18:19], s18, v0
	s_waitcnt lgkmcnt(0)
	s_barrier
	ds_write_b128 v23, v[5:8]
	s_waitcnt lgkmcnt(0)
	s_barrier
	s_and_saveexec_b64 s[20:21], s[18:19]
	s_cbranch_execz .LBB37_35
; %bb.32:
	v_add_u32_e32 v11, 0xfffffc00, v22
	ds_read_b64 v[11:12], v11
	s_waitcnt lgkmcnt(0)
	v_cmp_eq_u64_e32 vcc, v[9:10], v[11:12]
	s_and_saveexec_b64 s[24:25], vcc
	s_cbranch_execz .LBB37_34
; %bb.33:
	v_add_u32_e32 v11, 0xfffff800, v23
	ds_read_b128 v[11:14], v11
	s_waitcnt lgkmcnt(0)
	v_add_f64 v[5:6], v[5:6], v[11:12]
	v_add_f64 v[7:8], v[7:8], v[13:14]
.LBB37_34:
	s_or_b64 exec, exec, s[24:25]
.LBB37_35:
	s_or_b64 exec, exec, s[20:21]
	s_movk_i32 s20, 0xff
	v_cmp_gt_u32_e64 s[20:21], s20, v0
	s_barrier
	ds_write_b128 v23, v[5:8]
	s_waitcnt lgkmcnt(0)
	s_barrier
	s_and_saveexec_b64 s[26:27], s[20:21]
	s_cbranch_execz .LBB37_38
; %bb.36:
	ds_read_b64 v[11:12], v22 offset:8
	v_cmp_lt_i64_e64 s[24:25], -1, v[9:10]
	s_waitcnt lgkmcnt(0)
	v_cmp_ne_u64_e32 vcc, v[9:10], v[11:12]
	s_and_b64 s[24:25], s[24:25], vcc
	s_and_b64 exec, exec, s[24:25]
	s_cbranch_execz .LBB37_38
; %bb.37:
	v_lshlrev_b64 v[11:12], 4, v[9:10]
	v_mov_b32_e32 v13, s45
	v_add_co_u32_e32 v18, vcc, s44, v11
	v_addc_co_u32_e32 v19, vcc, v13, v12, vcc
	global_load_dwordx4 v[11:14], v[18:19], off
	s_waitcnt vmcnt(0)
	v_fma_f64 v[11:12], v[1:2], v[5:6], v[11:12]
	v_fma_f64 v[13:14], v[3:4], v[5:6], v[13:14]
	v_fma_f64 v[11:12], -v[3:4], v[7:8], v[11:12]
	v_fma_f64 v[13:14], v[1:2], v[7:8], v[13:14]
	global_store_dwordx4 v[18:19], v[11:14], off
.LBB37_38:
	s_or_b64 exec, exec, s[26:27]
	s_load_dwordx4 s[24:27], s[4:5], 0x48
	v_cmp_lt_i64_e64 s[4:5], s[30:31], 2
	s_and_b64 vcc, exec, s[4:5]
	s_cbranch_vccnz .LBB37_85
; %bb.39:
	s_add_u32 s46, s30, -1
	s_addc_u32 s47, s31, -1
	s_ashr_i32 s35, s34, 31
	s_lshl_b64 s[4:5], s[34:35], 4
	s_sub_u32 s33, s42, s4
	s_subb_u32 s35, s43, s5
	s_mul_i32 s4, s31, s6
	s_mul_hi_u32 s5, s30, s6
	s_add_i32 s5, s5, s4
	s_mul_i32 s4, s30, s6
	s_lshl_b64 s[30:31], s[4:5], 11
	v_lshl_or_b32 v5, v0, 3, s30
	s_movk_i32 s30, 0x800
	v_mov_b32_e32 v6, s31
	v_add_co_u32_e32 v5, vcc, s30, v5
	v_addc_co_u32_e32 v6, vcc, 0, v6, vcc
	v_mov_b32_e32 v7, s39
	v_add_co_u32_e32 v11, vcc, s38, v5
	v_addc_co_u32_e32 v12, vcc, v7, v6, vcc
	s_lshl_b64 s[4:5], s[4:5], 12
	v_mov_b32_e32 v7, s37
	v_add_co_u32_e32 v13, vcc, s36, v5
	s_add_u32 s4, s40, s4
	v_addc_co_u32_e32 v14, vcc, v7, v6, vcc
	s_addc_u32 s5, s41, s5
	v_mov_b32_e32 v5, s5
	v_add_co_u32_e32 v6, vcc, s4, v23
	v_addc_co_u32_e32 v5, vcc, 0, v5, vcc
	s_movk_i32 s4, 0x1008
	v_add_co_u32_e32 v15, vcc, s4, v6
	s_movk_i32 s30, 0x100
	s_mov_b64 s[4:5], vcc
	v_add_co_u32_e32 v18, vcc, s30, v16
	v_subrev_u32_e32 v28, 64, v23
	v_add_u32_e32 v29, 0xffffff80, v23
	v_add_u32_e32 v30, 0xffffff80, v22
	;; [unrolled: 1-line block ×7, first 2 shown]
	v_addc_co_u32_e32 v19, vcc, 0, v17, vcc
	v_add_u32_e32 v17, 0xfffffc00, v22
	v_add_u32_e32 v36, 0xfffff800, v23
	v_addc_co_u32_e64 v16, vcc, 0, v5, s[4:5]
	v_mov_b32_e32 v37, 0
	s_mov_b64 s[30:31], 0
	s_branch .LBB37_41
.LBB37_40:                              ;   in Loop: Header=BB37_41 Depth=1
	s_or_b64 exec, exec, s[36:37]
	v_add_co_u32_e32 v11, vcc, 0x800, v11
	v_addc_co_u32_e32 v12, vcc, 0, v12, vcc
	v_add_co_u32_e32 v13, vcc, 0x800, v13
	v_addc_co_u32_e32 v14, vcc, 0, v14, vcc
	s_add_u32 s30, s30, 1
	v_add_co_u32_e32 v15, vcc, 0x1000, v15
	s_addc_u32 s31, s31, 0
	v_mov_b32_e32 v20, s30
	v_addc_co_u32_e32 v16, vcc, 0, v16, vcc
	v_mov_b32_e32 v21, s31
	v_add_co_u32_e32 v18, vcc, 0x100, v18
	v_cmp_le_u64_e64 s[4:5], s[46:47], v[20:21]
	v_addc_co_u32_e32 v19, vcc, 0, v19, vcc
	s_and_b64 vcc, exec, s[4:5]
	s_cbranch_vccnz .LBB37_85
.LBB37_41:                              ; =>This Inner Loop Header: Depth=1
	v_cmp_gt_i64_e32 vcc, s[28:29], v[18:19]
	v_mov_b32_e32 v9, -1
	v_mov_b32_e32 v5, 0
	v_mov_b32_e32 v7, 0
	v_mov_b32_e32 v10, -1
	v_mov_b32_e32 v6, 0
	v_mov_b32_e32 v8, 0
	s_and_saveexec_b64 s[4:5], vcc
	s_cbranch_execz .LBB37_43
; %bb.42:                               ;   in Loop: Header=BB37_41 Depth=1
	global_load_dwordx2 v[9:10], v[11:12], off glc slc
	global_load_dwordx4 v[5:8], v[15:16], off offset:-8 glc slc
	v_mov_b32_e32 v20, s35
	s_waitcnt vmcnt(1)
	v_lshlrev_b64 v[9:10], 4, v[9:10]
	v_add_co_u32_e32 v9, vcc, s33, v9
	v_addc_co_u32_e32 v10, vcc, v20, v10, vcc
	global_load_dwordx4 v[38:41], v[9:10], off
	global_load_dwordx2 v[20:21], v[13:14], off glc slc
	s_waitcnt vmcnt(1)
	v_mul_f64 v[9:10], v[40:41], -v[7:8]
	v_mul_f64 v[40:41], v[5:6], v[40:41]
	v_fma_f64 v[5:6], v[5:6], v[38:39], v[9:10]
	v_fma_f64 v[7:8], v[7:8], v[38:39], v[40:41]
	s_waitcnt vmcnt(0)
	v_subrev_co_u32_e32 v9, vcc, s34, v20
	v_subbrev_co_u32_e32 v10, vcc, 0, v21, vcc
.LBB37_43:                              ;   in Loop: Header=BB37_41 Depth=1
	s_or_b64 exec, exec, s[4:5]
	s_and_saveexec_b64 s[4:5], s[0:1]
	s_cbranch_execz .LBB37_50
; %bb.44:                               ;   in Loop: Header=BB37_41 Depth=1
	ds_read_b64 v[20:21], v37 offset:6136
	s_waitcnt lgkmcnt(0)
	v_cmp_ne_u64_e32 vcc, v[9:10], v[20:21]
	s_and_saveexec_b64 s[36:37], vcc
	s_xor_b64 s[36:37], exec, s[36:37]
	s_cbranch_execz .LBB37_47
; %bb.45:                               ;   in Loop: Header=BB37_41 Depth=1
	v_cmp_gt_i64_e32 vcc, 0, v[20:21]
	s_cbranch_vccnz .LBB37_47
; %bb.46:                               ;   in Loop: Header=BB37_41 Depth=1
	v_lshlrev_b64 v[20:21], 4, v[20:21]
	v_mov_b32_e32 v38, s45
	v_add_co_u32_e32 v20, vcc, s44, v20
	v_addc_co_u32_e32 v21, vcc, v38, v21, vcc
	global_load_dwordx4 v[38:41], v[20:21], off
	ds_read_b128 v[42:45], v37 offset:4080
	s_waitcnt vmcnt(0) lgkmcnt(0)
	v_fma_f64 v[38:39], v[1:2], v[42:43], v[38:39]
	v_fma_f64 v[40:41], v[3:4], v[42:43], v[40:41]
	v_fma_f64 v[38:39], -v[3:4], v[44:45], v[38:39]
	v_fma_f64 v[40:41], v[1:2], v[44:45], v[40:41]
	global_store_dwordx4 v[20:21], v[38:41], off
.LBB37_47:                              ;   in Loop: Header=BB37_41 Depth=1
	s_andn2_saveexec_b64 s[36:37], s[36:37]
	s_cbranch_execz .LBB37_49
; %bb.48:                               ;   in Loop: Header=BB37_41 Depth=1
	ds_read_b128 v[38:41], v37 offset:4080
	s_waitcnt lgkmcnt(0)
	v_add_f64 v[5:6], v[5:6], v[38:39]
	v_add_f64 v[7:8], v[7:8], v[40:41]
.LBB37_49:                              ;   in Loop: Header=BB37_41 Depth=1
	s_or_b64 exec, exec, s[36:37]
.LBB37_50:                              ;   in Loop: Header=BB37_41 Depth=1
	s_or_b64 exec, exec, s[4:5]
	s_waitcnt vmcnt(0) lgkmcnt(0)
	s_barrier
	ds_write_b64 v22, v[9:10]
	ds_write_b128 v23, v[5:8]
	s_waitcnt lgkmcnt(0)
	s_barrier
	s_and_saveexec_b64 s[4:5], s[2:3]
	s_cbranch_execz .LBB37_54
; %bb.51:                               ;   in Loop: Header=BB37_41 Depth=1
	ds_read_b64 v[20:21], v24
	s_waitcnt lgkmcnt(0)
	v_cmp_eq_u64_e32 vcc, v[9:10], v[20:21]
	s_and_saveexec_b64 s[36:37], vcc
	s_cbranch_execz .LBB37_53
; %bb.52:                               ;   in Loop: Header=BB37_41 Depth=1
	v_add_u32_e32 v20, -16, v23
	ds_read_b128 v[38:41], v20
	s_waitcnt lgkmcnt(0)
	v_add_f64 v[5:6], v[5:6], v[38:39]
	v_add_f64 v[7:8], v[7:8], v[40:41]
.LBB37_53:                              ;   in Loop: Header=BB37_41 Depth=1
	s_or_b64 exec, exec, s[36:37]
.LBB37_54:                              ;   in Loop: Header=BB37_41 Depth=1
	s_or_b64 exec, exec, s[4:5]
	s_barrier
	ds_write_b128 v23, v[5:8]
	s_waitcnt lgkmcnt(0)
	s_barrier
	s_and_saveexec_b64 s[4:5], s[22:23]
	s_cbranch_execz .LBB37_58
; %bb.55:                               ;   in Loop: Header=BB37_41 Depth=1
	ds_read_b64 v[20:21], v25
	s_waitcnt lgkmcnt(0)
	v_cmp_eq_u64_e32 vcc, v[9:10], v[20:21]
	s_and_saveexec_b64 s[36:37], vcc
	s_cbranch_execz .LBB37_57
; %bb.56:                               ;   in Loop: Header=BB37_41 Depth=1
	v_subrev_u32_e32 v20, 32, v23
	ds_read_b128 v[38:41], v20
	s_waitcnt lgkmcnt(0)
	v_add_f64 v[5:6], v[5:6], v[38:39]
	v_add_f64 v[7:8], v[7:8], v[40:41]
.LBB37_57:                              ;   in Loop: Header=BB37_41 Depth=1
	s_or_b64 exec, exec, s[36:37]
.LBB37_58:                              ;   in Loop: Header=BB37_41 Depth=1
	s_or_b64 exec, exec, s[4:5]
	s_barrier
	ds_write_b128 v23, v[5:8]
	s_waitcnt lgkmcnt(0)
	s_barrier
	s_and_saveexec_b64 s[4:5], s[8:9]
	s_cbranch_execz .LBB37_62
; %bb.59:                               ;   in Loop: Header=BB37_41 Depth=1
	ds_read_b64 v[20:21], v26
	s_waitcnt lgkmcnt(0)
	v_cmp_eq_u64_e32 vcc, v[9:10], v[20:21]
	s_and_saveexec_b64 s[36:37], vcc
	s_cbranch_execz .LBB37_61
; %bb.60:                               ;   in Loop: Header=BB37_41 Depth=1
	ds_read_b128 v[38:41], v28
	s_waitcnt lgkmcnt(0)
	v_add_f64 v[5:6], v[5:6], v[38:39]
	v_add_f64 v[7:8], v[7:8], v[40:41]
.LBB37_61:                              ;   in Loop: Header=BB37_41 Depth=1
	s_or_b64 exec, exec, s[36:37]
.LBB37_62:                              ;   in Loop: Header=BB37_41 Depth=1
	s_or_b64 exec, exec, s[4:5]
	s_barrier
	ds_write_b128 v23, v[5:8]
	s_waitcnt lgkmcnt(0)
	s_barrier
	s_and_saveexec_b64 s[4:5], s[10:11]
	s_cbranch_execz .LBB37_66
; %bb.63:                               ;   in Loop: Header=BB37_41 Depth=1
	ds_read_b64 v[20:21], v27
	s_waitcnt lgkmcnt(0)
	v_cmp_eq_u64_e32 vcc, v[9:10], v[20:21]
	s_and_saveexec_b64 s[36:37], vcc
	s_cbranch_execz .LBB37_65
; %bb.64:                               ;   in Loop: Header=BB37_41 Depth=1
	ds_read_b128 v[38:41], v29
	s_waitcnt lgkmcnt(0)
	v_add_f64 v[5:6], v[5:6], v[38:39]
	v_add_f64 v[7:8], v[7:8], v[40:41]
.LBB37_65:                              ;   in Loop: Header=BB37_41 Depth=1
	s_or_b64 exec, exec, s[36:37]
.LBB37_66:                              ;   in Loop: Header=BB37_41 Depth=1
	;; [unrolled: 21-line block ×6, first 2 shown]
	s_or_b64 exec, exec, s[4:5]
	s_barrier
	ds_write_b128 v23, v[5:8]
	s_waitcnt lgkmcnt(0)
	s_barrier
	s_and_saveexec_b64 s[36:37], s[20:21]
	s_cbranch_execz .LBB37_40
; %bb.83:                               ;   in Loop: Header=BB37_41 Depth=1
	ds_read_b64 v[20:21], v22 offset:8
	v_cmp_lt_i64_e64 s[4:5], -1, v[9:10]
	s_waitcnt lgkmcnt(0)
	v_cmp_ne_u64_e32 vcc, v[9:10], v[20:21]
	s_and_b64 s[4:5], s[4:5], vcc
	s_and_b64 exec, exec, s[4:5]
	s_cbranch_execz .LBB37_40
; %bb.84:                               ;   in Loop: Header=BB37_41 Depth=1
	v_lshlrev_b64 v[20:21], 4, v[9:10]
	v_mov_b32_e32 v38, s45
	v_add_co_u32_e32 v20, vcc, s44, v20
	v_addc_co_u32_e32 v21, vcc, v38, v21, vcc
	global_load_dwordx4 v[38:41], v[20:21], off
	s_waitcnt vmcnt(0)
	v_fma_f64 v[38:39], v[1:2], v[5:6], v[38:39]
	v_fma_f64 v[40:41], v[3:4], v[5:6], v[40:41]
	v_fma_f64 v[38:39], -v[3:4], v[7:8], v[38:39]
	v_fma_f64 v[40:41], v[1:2], v[7:8], v[40:41]
	global_store_dwordx4 v[20:21], v[38:41], off
	s_branch .LBB37_40
.LBB37_85:
	s_movk_i32 s0, 0xff
	v_cmp_eq_u32_e32 vcc, s0, v0
	s_and_b64 exec, exec, vcc
	s_cbranch_execz .LBB37_87
; %bb.86:
	v_mul_f64 v[11:12], v[7:8], -v[3:4]
	v_mul_f64 v[7:8], v[1:2], v[7:8]
	s_lshl_b64 s[0:1], s[6:7], 3
	s_waitcnt lgkmcnt(0)
	s_add_u32 s0, s24, s0
	s_addc_u32 s1, s25, s1
	v_fma_f64 v[0:1], v[1:2], v[5:6], v[11:12]
	v_fma_f64 v[2:3], v[3:4], v[5:6], v[7:8]
	v_mov_b32_e32 v4, 0
	global_store_dwordx2 v4, v[9:10], s[0:1] glc slc
	s_lshl_b64 s[0:1], s[6:7], 4
	s_add_u32 s0, s26, s0
	s_addc_u32 s1, s27, s1
	global_store_dwordx4 v4, v[0:3], s[0:1] glc slc
.LBB37_87:
	s_endpgm
	.section	.rodata,"a",@progbits
	.p2align	6, 0x0
	.amdhsa_kernel _ZN9rocsparseL22coomvn_segmented_loopsILj256El21rocsparse_complex_numIdES2_S2_S2_EEvlT0_NS_24const_host_device_scalarIT4_EEPKS3_S8_PKT1_PKT2_PT3_PS3_PS5_21rocsparse_index_base_b
		.amdhsa_group_segment_fixed_size 6144
		.amdhsa_private_segment_fixed_size 0
		.amdhsa_kernarg_size 96
		.amdhsa_user_sgpr_count 6
		.amdhsa_user_sgpr_private_segment_buffer 1
		.amdhsa_user_sgpr_dispatch_ptr 0
		.amdhsa_user_sgpr_queue_ptr 0
		.amdhsa_user_sgpr_kernarg_segment_ptr 1
		.amdhsa_user_sgpr_dispatch_id 0
		.amdhsa_user_sgpr_flat_scratch_init 0
		.amdhsa_user_sgpr_private_segment_size 0
		.amdhsa_uses_dynamic_stack 0
		.amdhsa_system_sgpr_private_segment_wavefront_offset 0
		.amdhsa_system_sgpr_workgroup_id_x 1
		.amdhsa_system_sgpr_workgroup_id_y 0
		.amdhsa_system_sgpr_workgroup_id_z 0
		.amdhsa_system_sgpr_workgroup_info 0
		.amdhsa_system_vgpr_workitem_id 0
		.amdhsa_next_free_vgpr 46
		.amdhsa_next_free_sgpr 48
		.amdhsa_reserve_vcc 1
		.amdhsa_reserve_flat_scratch 0
		.amdhsa_float_round_mode_32 0
		.amdhsa_float_round_mode_16_64 0
		.amdhsa_float_denorm_mode_32 3
		.amdhsa_float_denorm_mode_16_64 3
		.amdhsa_dx10_clamp 1
		.amdhsa_ieee_mode 1
		.amdhsa_fp16_overflow 0
		.amdhsa_exception_fp_ieee_invalid_op 0
		.amdhsa_exception_fp_denorm_src 0
		.amdhsa_exception_fp_ieee_div_zero 0
		.amdhsa_exception_fp_ieee_overflow 0
		.amdhsa_exception_fp_ieee_underflow 0
		.amdhsa_exception_fp_ieee_inexact 0
		.amdhsa_exception_int_div_zero 0
	.end_amdhsa_kernel
	.section	.text._ZN9rocsparseL22coomvn_segmented_loopsILj256El21rocsparse_complex_numIdES2_S2_S2_EEvlT0_NS_24const_host_device_scalarIT4_EEPKS3_S8_PKT1_PKT2_PT3_PS3_PS5_21rocsparse_index_base_b,"axG",@progbits,_ZN9rocsparseL22coomvn_segmented_loopsILj256El21rocsparse_complex_numIdES2_S2_S2_EEvlT0_NS_24const_host_device_scalarIT4_EEPKS3_S8_PKT1_PKT2_PT3_PS3_PS5_21rocsparse_index_base_b,comdat
.Lfunc_end37:
	.size	_ZN9rocsparseL22coomvn_segmented_loopsILj256El21rocsparse_complex_numIdES2_S2_S2_EEvlT0_NS_24const_host_device_scalarIT4_EEPKS3_S8_PKT1_PKT2_PT3_PS3_PS5_21rocsparse_index_base_b, .Lfunc_end37-_ZN9rocsparseL22coomvn_segmented_loopsILj256El21rocsparse_complex_numIdES2_S2_S2_EEvlT0_NS_24const_host_device_scalarIT4_EEPKS3_S8_PKT1_PKT2_PT3_PS3_PS5_21rocsparse_index_base_b
                                        ; -- End function
	.set _ZN9rocsparseL22coomvn_segmented_loopsILj256El21rocsparse_complex_numIdES2_S2_S2_EEvlT0_NS_24const_host_device_scalarIT4_EEPKS3_S8_PKT1_PKT2_PT3_PS3_PS5_21rocsparse_index_base_b.num_vgpr, 46
	.set _ZN9rocsparseL22coomvn_segmented_loopsILj256El21rocsparse_complex_numIdES2_S2_S2_EEvlT0_NS_24const_host_device_scalarIT4_EEPKS3_S8_PKT1_PKT2_PT3_PS3_PS5_21rocsparse_index_base_b.num_agpr, 0
	.set _ZN9rocsparseL22coomvn_segmented_loopsILj256El21rocsparse_complex_numIdES2_S2_S2_EEvlT0_NS_24const_host_device_scalarIT4_EEPKS3_S8_PKT1_PKT2_PT3_PS3_PS5_21rocsparse_index_base_b.numbered_sgpr, 48
	.set _ZN9rocsparseL22coomvn_segmented_loopsILj256El21rocsparse_complex_numIdES2_S2_S2_EEvlT0_NS_24const_host_device_scalarIT4_EEPKS3_S8_PKT1_PKT2_PT3_PS3_PS5_21rocsparse_index_base_b.num_named_barrier, 0
	.set _ZN9rocsparseL22coomvn_segmented_loopsILj256El21rocsparse_complex_numIdES2_S2_S2_EEvlT0_NS_24const_host_device_scalarIT4_EEPKS3_S8_PKT1_PKT2_PT3_PS3_PS5_21rocsparse_index_base_b.private_seg_size, 0
	.set _ZN9rocsparseL22coomvn_segmented_loopsILj256El21rocsparse_complex_numIdES2_S2_S2_EEvlT0_NS_24const_host_device_scalarIT4_EEPKS3_S8_PKT1_PKT2_PT3_PS3_PS5_21rocsparse_index_base_b.uses_vcc, 1
	.set _ZN9rocsparseL22coomvn_segmented_loopsILj256El21rocsparse_complex_numIdES2_S2_S2_EEvlT0_NS_24const_host_device_scalarIT4_EEPKS3_S8_PKT1_PKT2_PT3_PS3_PS5_21rocsparse_index_base_b.uses_flat_scratch, 0
	.set _ZN9rocsparseL22coomvn_segmented_loopsILj256El21rocsparse_complex_numIdES2_S2_S2_EEvlT0_NS_24const_host_device_scalarIT4_EEPKS3_S8_PKT1_PKT2_PT3_PS3_PS5_21rocsparse_index_base_b.has_dyn_sized_stack, 0
	.set _ZN9rocsparseL22coomvn_segmented_loopsILj256El21rocsparse_complex_numIdES2_S2_S2_EEvlT0_NS_24const_host_device_scalarIT4_EEPKS3_S8_PKT1_PKT2_PT3_PS3_PS5_21rocsparse_index_base_b.has_recursion, 0
	.set _ZN9rocsparseL22coomvn_segmented_loopsILj256El21rocsparse_complex_numIdES2_S2_S2_EEvlT0_NS_24const_host_device_scalarIT4_EEPKS3_S8_PKT1_PKT2_PT3_PS3_PS5_21rocsparse_index_base_b.has_indirect_call, 0
	.section	.AMDGPU.csdata,"",@progbits
; Kernel info:
; codeLenInByte = 3036
; TotalNumSgprs: 52
; NumVgprs: 46
; ScratchSize: 0
; MemoryBound: 1
; FloatMode: 240
; IeeeMode: 1
; LDSByteSize: 6144 bytes/workgroup (compile time only)
; SGPRBlocks: 6
; VGPRBlocks: 11
; NumSGPRsForWavesPerEU: 52
; NumVGPRsForWavesPerEU: 46
; Occupancy: 5
; WaveLimiterHint : 1
; COMPUTE_PGM_RSRC2:SCRATCH_EN: 0
; COMPUTE_PGM_RSRC2:USER_SGPR: 6
; COMPUTE_PGM_RSRC2:TRAP_HANDLER: 0
; COMPUTE_PGM_RSRC2:TGID_X_EN: 1
; COMPUTE_PGM_RSRC2:TGID_Y_EN: 0
; COMPUTE_PGM_RSRC2:TGID_Z_EN: 0
; COMPUTE_PGM_RSRC2:TIDIG_COMP_CNT: 0
	.section	.text._ZN9rocsparseL29coomvn_segmented_loops_reduceILj256El21rocsparse_complex_numIdES2_EEvT0_NS_24const_host_device_scalarIT2_EEPKS3_PKS5_PT1_b,"axG",@progbits,_ZN9rocsparseL29coomvn_segmented_loops_reduceILj256El21rocsparse_complex_numIdES2_EEvT0_NS_24const_host_device_scalarIT2_EEPKS3_PKS5_PT1_b,comdat
	.globl	_ZN9rocsparseL29coomvn_segmented_loops_reduceILj256El21rocsparse_complex_numIdES2_EEvT0_NS_24const_host_device_scalarIT2_EEPKS3_PKS5_PT1_b ; -- Begin function _ZN9rocsparseL29coomvn_segmented_loops_reduceILj256El21rocsparse_complex_numIdES2_EEvT0_NS_24const_host_device_scalarIT2_EEPKS3_PKS5_PT1_b
	.p2align	8
	.type	_ZN9rocsparseL29coomvn_segmented_loops_reduceILj256El21rocsparse_complex_numIdES2_EEvT0_NS_24const_host_device_scalarIT2_EEPKS3_PKS5_PT1_b,@function
_ZN9rocsparseL29coomvn_segmented_loops_reduceILj256El21rocsparse_complex_numIdES2_EEvT0_NS_24const_host_device_scalarIT2_EEPKS3_PKS5_PT1_b: ; @_ZN9rocsparseL29coomvn_segmented_loops_reduceILj256El21rocsparse_complex_numIdES2_EEvT0_NS_24const_host_device_scalarIT2_EEPKS3_PKS5_PT1_b
; %bb.0:
	s_load_dword s0, s[4:5], 0x30
	s_load_dwordx4 s[8:11], s[4:5], 0x0
	s_or_b32 s1, s4, 8
	s_waitcnt lgkmcnt(0)
	s_bitcmp1_b32 s0, 0
	s_cselect_b32 s0, s5, s11
	s_cselect_b32 s1, s1, s10
	v_mov_b32_e32 v1, s1
	v_mov_b32_e32 v2, s0
	flat_load_dwordx4 v[1:4], v[1:2]
	s_waitcnt vmcnt(0) lgkmcnt(0)
	v_cmp_neq_f64_e32 vcc, 0, v[1:2]
	v_cmp_neq_f64_e64 s[0:1], 0, v[3:4]
	s_or_b64 s[0:1], vcc, s[0:1]
	s_and_saveexec_b64 s[2:3], s[0:1]
	s_cbranch_execz .LBB38_42
; %bb.1:
	v_cmp_lt_i64_e64 s[0:1], s[8:9], 1
	s_and_b64 vcc, exec, s[0:1]
	s_cbranch_vccnz .LBB38_42
; %bb.2:
	v_subrev_co_u32_e32 v2, vcc, 1, v0
	v_mov_b32_e32 v3, 0x1000
	s_xor_b64 s[10:11], vcc, -1
	v_lshl_add_u32 v15, v2, 3, v3
	v_subrev_co_u32_e32 v2, vcc, 2, v0
	s_xor_b64 s[16:17], vcc, -1
	v_lshl_add_u32 v16, v2, 3, v3
	v_subrev_co_u32_e32 v2, vcc, 4, v0
	;; [unrolled: 3-line block ×3, first 2 shown]
	s_load_dwordx4 s[12:15], s[4:5], 0x18
	s_load_dwordx2 s[6:7], s[4:5], 0x28
	s_xor_b64 s[20:21], vcc, -1
	v_lshl_add_u32 v18, v2, 3, v3
	v_subrev_co_u32_e32 v2, vcc, 16, v0
	s_xor_b64 s[22:23], vcc, -1
	v_lshl_add_u32 v20, v2, 3, v3
	v_subrev_co_u32_e32 v2, vcc, 32, v0
	v_lshl_add_u32 v21, v2, 3, v3
	v_subrev_co_u32_e64 v2, s[0:1], 64, v0
	s_movk_i32 s2, 0x80
	v_lshlrev_b32_e32 v14, 4, v0
	v_lshl_add_u32 v22, v2, 3, v3
	v_subrev_co_u32_e64 v2, s[2:3], s2, v0
	v_lshl_add_u32 v23, v2, 3, v3
	s_waitcnt lgkmcnt(0)
	v_mov_b32_e32 v2, s15
	v_add_co_u32_e64 v3, s[4:5], s14, v14
	v_addc_co_u32_e64 v2, s[4:5], 0, v2, s[4:5]
	v_add_co_u32_e64 v9, s[4:5], 8, v3
	v_lshlrev_b32_e32 v1, 3, v0
	v_addc_co_u32_e64 v10, s[4:5], 0, v2, s[4:5]
	v_mov_b32_e32 v2, s13
	v_add_co_u32_e64 v11, s[4:5], s12, v1
	v_addc_co_u32_e64 v12, s[4:5], 0, v2, s[4:5]
	s_xor_b64 s[12:13], s[0:1], -1
	s_movk_i32 s0, 0xff
	v_or_b32_e32 v13, 0x1000, v1
	v_add_u32_e32 v19, 0xffffff80, v14
	v_add_u32_e32 v24, 0xffffff00, v14
	s_xor_b64 s[4:5], vcc, -1
	s_xor_b64 s[14:15], s[2:3], -1
	v_cmp_gt_u32_e64 s[0:1], s0, v0
	s_mov_b64 s[24:25], 0
	v_add_u32_e32 v25, 0xfffffe00, v14
	v_add_u32_e32 v26, 0xfffffc00, v14
	;; [unrolled: 1-line block ×3, first 2 shown]
	s_branch .LBB38_4
.LBB38_3:                               ;   in Loop: Header=BB38_4 Depth=1
	s_or_b64 exec, exec, s[2:3]
	s_add_u32 s24, s24, 0x100
	v_add_co_u32_e32 v9, vcc, 0x1000, v9
	v_mov_b32_e32 v1, s8
	s_addc_u32 s25, s25, 0
	v_addc_co_u32_e32 v10, vcc, 0, v10, vcc
	v_mov_b32_e32 v2, s9
	v_add_co_u32_e32 v11, vcc, 0x800, v11
	v_cmp_lt_i64_e64 s[2:3], s[24:25], v[1:2]
	v_addc_co_u32_e32 v12, vcc, 0, v12, vcc
	s_and_b64 vcc, exec, s[2:3]
	s_waitcnt vmcnt(0)
	s_barrier
	s_cbranch_vccz .LBB38_42
.LBB38_4:                               ; =>This Inner Loop Header: Depth=1
	v_mov_b32_e32 v2, s25
	v_add_co_u32_e32 v1, vcc, s24, v0
	v_addc_co_u32_e32 v2, vcc, 0, v2, vcc
	v_cmp_gt_i64_e32 vcc, s[8:9], v[1:2]
	v_mov_b32_e32 v3, 0
	v_mov_b32_e32 v1, -1
	v_mov_b32_e32 v7, 0
	v_mov_b32_e32 v5, 0
	;; [unrolled: 1-line block ×3, first 2 shown]
	v_mov_b32_e32 v2, -1
	v_mov_b32_e32 v8, 0
	v_mov_b32_e32 v6, 0
	s_and_saveexec_b64 s[2:3], vcc
	s_cbranch_execz .LBB38_6
; %bb.5:                                ;   in Loop: Header=BB38_4 Depth=1
	global_load_dwordx2 v[1:2], v[11:12], off
	global_load_dwordx4 v[5:8], v[9:10], off offset:-8
.LBB38_6:                               ;   in Loop: Header=BB38_4 Depth=1
	s_or_b64 exec, exec, s[2:3]
	s_waitcnt vmcnt(1)
	ds_write_b64 v13, v[1:2]
	s_waitcnt vmcnt(0)
	ds_write_b128 v14, v[5:8]
	v_mov_b32_e32 v1, 0
	v_mov_b32_e32 v2, 0
	s_waitcnt lgkmcnt(0)
	s_barrier
	s_and_saveexec_b64 s[2:3], s[10:11]
	s_cbranch_execz .LBB38_10
; %bb.7:                                ;   in Loop: Header=BB38_4 Depth=1
	ds_read2_b64 v[3:6], v15 offset1:1
	v_mov_b32_e32 v1, 0
	v_mov_b32_e32 v2, 0
	s_waitcnt lgkmcnt(0)
	v_cmp_eq_u64_e32 vcc, v[5:6], v[3:4]
	v_mov_b32_e32 v3, 0
	v_mov_b32_e32 v4, 0
	s_and_saveexec_b64 s[26:27], vcc
; %bb.8:                                ;   in Loop: Header=BB38_4 Depth=1
	v_add_u32_e32 v1, -16, v14
	ds_read_b128 v[1:4], v1
; %bb.9:                                ;   in Loop: Header=BB38_4 Depth=1
	s_or_b64 exec, exec, s[26:27]
.LBB38_10:                              ;   in Loop: Header=BB38_4 Depth=1
	s_or_b64 exec, exec, s[2:3]
	s_waitcnt lgkmcnt(0)
	s_barrier
	ds_read_b128 v[5:8], v14
	s_waitcnt lgkmcnt(0)
	v_add_f64 v[28:29], v[1:2], v[5:6]
	v_add_f64 v[30:31], v[3:4], v[7:8]
	v_mov_b32_e32 v3, 0
	v_mov_b32_e32 v7, 0
	;; [unrolled: 1-line block ×6, first 2 shown]
	ds_write_b128 v14, v[28:31]
	s_waitcnt lgkmcnt(0)
	s_barrier
	s_and_saveexec_b64 s[2:3], s[16:17]
	s_cbranch_execz .LBB38_14
; %bb.11:                               ;   in Loop: Header=BB38_4 Depth=1
	ds_read_b64 v[1:2], v13
	ds_read_b64 v[7:8], v16
	v_mov_b32_e32 v5, 0
	v_mov_b32_e32 v6, 0
	s_waitcnt lgkmcnt(0)
	v_cmp_eq_u64_e32 vcc, v[1:2], v[7:8]
	v_mov_b32_e32 v7, 0
	v_mov_b32_e32 v8, 0
	s_and_saveexec_b64 s[26:27], vcc
; %bb.12:                               ;   in Loop: Header=BB38_4 Depth=1
	v_subrev_u32_e32 v1, 32, v14
	ds_read_b128 v[5:8], v1
; %bb.13:                               ;   in Loop: Header=BB38_4 Depth=1
	s_or_b64 exec, exec, s[26:27]
.LBB38_14:                              ;   in Loop: Header=BB38_4 Depth=1
	s_or_b64 exec, exec, s[2:3]
	s_waitcnt lgkmcnt(0)
	s_barrier
	ds_read_b128 v[28:31], v14
	v_mov_b32_e32 v1, 0
	v_mov_b32_e32 v2, 0
	s_waitcnt lgkmcnt(0)
	v_add_f64 v[5:6], v[5:6], v[28:29]
	v_add_f64 v[7:8], v[7:8], v[30:31]
	ds_write_b128 v14, v[5:8]
	s_waitcnt lgkmcnt(0)
	s_barrier
	s_and_saveexec_b64 s[2:3], s[18:19]
	s_cbranch_execz .LBB38_18
; %bb.15:                               ;   in Loop: Header=BB38_4 Depth=1
	ds_read_b64 v[3:4], v13
	ds_read_b64 v[5:6], v17
	v_mov_b32_e32 v1, 0
	v_mov_b32_e32 v2, 0
	s_waitcnt lgkmcnt(0)
	v_cmp_eq_u64_e32 vcc, v[3:4], v[5:6]
	v_mov_b32_e32 v3, 0
	v_mov_b32_e32 v4, 0
	s_and_saveexec_b64 s[26:27], vcc
; %bb.16:                               ;   in Loop: Header=BB38_4 Depth=1
	v_subrev_u32_e32 v1, 64, v14
	ds_read_b128 v[1:4], v1
; %bb.17:                               ;   in Loop: Header=BB38_4 Depth=1
	s_or_b64 exec, exec, s[26:27]
.LBB38_18:                              ;   in Loop: Header=BB38_4 Depth=1
	s_or_b64 exec, exec, s[2:3]
	s_waitcnt lgkmcnt(0)
	s_barrier
	ds_read_b128 v[5:8], v14
	s_waitcnt lgkmcnt(0)
	v_add_f64 v[28:29], v[1:2], v[5:6]
	v_add_f64 v[30:31], v[3:4], v[7:8]
	v_mov_b32_e32 v3, 0
	v_mov_b32_e32 v7, 0
	;; [unrolled: 1-line block ×6, first 2 shown]
	ds_write_b128 v14, v[28:31]
	s_waitcnt lgkmcnt(0)
	s_barrier
	s_and_saveexec_b64 s[2:3], s[20:21]
	s_cbranch_execz .LBB38_22
; %bb.19:                               ;   in Loop: Header=BB38_4 Depth=1
	ds_read_b64 v[1:2], v13
	ds_read_b64 v[7:8], v18
	v_mov_b32_e32 v5, 0
	v_mov_b32_e32 v6, 0
	s_waitcnt lgkmcnt(0)
	v_cmp_eq_u64_e32 vcc, v[1:2], v[7:8]
	v_mov_b32_e32 v7, 0
	v_mov_b32_e32 v8, 0
	s_and_saveexec_b64 s[26:27], vcc
; %bb.20:                               ;   in Loop: Header=BB38_4 Depth=1
	ds_read_b128 v[5:8], v19
; %bb.21:                               ;   in Loop: Header=BB38_4 Depth=1
	s_or_b64 exec, exec, s[26:27]
.LBB38_22:                              ;   in Loop: Header=BB38_4 Depth=1
	s_or_b64 exec, exec, s[2:3]
	s_waitcnt lgkmcnt(0)
	s_barrier
	ds_read_b128 v[28:31], v14
	v_mov_b32_e32 v1, 0
	v_mov_b32_e32 v2, 0
	s_waitcnt lgkmcnt(0)
	v_add_f64 v[5:6], v[5:6], v[28:29]
	v_add_f64 v[7:8], v[7:8], v[30:31]
	ds_write_b128 v14, v[5:8]
	s_waitcnt lgkmcnt(0)
	s_barrier
	s_and_saveexec_b64 s[2:3], s[22:23]
	s_cbranch_execz .LBB38_26
; %bb.23:                               ;   in Loop: Header=BB38_4 Depth=1
	ds_read_b64 v[3:4], v13
	ds_read_b64 v[5:6], v20
	v_mov_b32_e32 v1, 0
	v_mov_b32_e32 v2, 0
	s_waitcnt lgkmcnt(0)
	v_cmp_eq_u64_e32 vcc, v[3:4], v[5:6]
	v_mov_b32_e32 v3, 0
	v_mov_b32_e32 v4, 0
	s_and_saveexec_b64 s[26:27], vcc
; %bb.24:                               ;   in Loop: Header=BB38_4 Depth=1
	ds_read_b128 v[1:4], v24
; %bb.25:                               ;   in Loop: Header=BB38_4 Depth=1
	s_or_b64 exec, exec, s[26:27]
.LBB38_26:                              ;   in Loop: Header=BB38_4 Depth=1
	s_or_b64 exec, exec, s[2:3]
	s_waitcnt lgkmcnt(0)
	s_barrier
	ds_read_b128 v[5:8], v14
	s_waitcnt lgkmcnt(0)
	v_add_f64 v[28:29], v[1:2], v[5:6]
	v_add_f64 v[30:31], v[3:4], v[7:8]
	v_mov_b32_e32 v3, 0
	v_mov_b32_e32 v7, 0
	;; [unrolled: 1-line block ×6, first 2 shown]
	ds_write_b128 v14, v[28:31]
	s_waitcnt lgkmcnt(0)
	s_barrier
	s_and_saveexec_b64 s[2:3], s[4:5]
	s_cbranch_execz .LBB38_30
; %bb.27:                               ;   in Loop: Header=BB38_4 Depth=1
	ds_read_b64 v[1:2], v13
	ds_read_b64 v[7:8], v21
	v_mov_b32_e32 v5, 0
	v_mov_b32_e32 v6, 0
	s_waitcnt lgkmcnt(0)
	v_cmp_eq_u64_e32 vcc, v[1:2], v[7:8]
	v_mov_b32_e32 v7, 0
	v_mov_b32_e32 v8, 0
	s_and_saveexec_b64 s[26:27], vcc
; %bb.28:                               ;   in Loop: Header=BB38_4 Depth=1
	ds_read_b128 v[5:8], v25
; %bb.29:                               ;   in Loop: Header=BB38_4 Depth=1
	s_or_b64 exec, exec, s[26:27]
.LBB38_30:                              ;   in Loop: Header=BB38_4 Depth=1
	s_or_b64 exec, exec, s[2:3]
	s_waitcnt lgkmcnt(0)
	s_barrier
	ds_read_b128 v[28:31], v14
	v_mov_b32_e32 v1, 0
	v_mov_b32_e32 v2, 0
	s_waitcnt lgkmcnt(0)
	v_add_f64 v[5:6], v[5:6], v[28:29]
	v_add_f64 v[7:8], v[7:8], v[30:31]
	ds_write_b128 v14, v[5:8]
	s_waitcnt lgkmcnt(0)
	s_barrier
	s_and_saveexec_b64 s[2:3], s[12:13]
	s_cbranch_execz .LBB38_34
; %bb.31:                               ;   in Loop: Header=BB38_4 Depth=1
	ds_read_b64 v[3:4], v13
	ds_read_b64 v[5:6], v22
	v_mov_b32_e32 v1, 0
	v_mov_b32_e32 v2, 0
	s_waitcnt lgkmcnt(0)
	v_cmp_eq_u64_e32 vcc, v[3:4], v[5:6]
	v_mov_b32_e32 v3, 0
	v_mov_b32_e32 v4, 0
	s_and_saveexec_b64 s[26:27], vcc
; %bb.32:                               ;   in Loop: Header=BB38_4 Depth=1
	ds_read_b128 v[1:4], v26
; %bb.33:                               ;   in Loop: Header=BB38_4 Depth=1
	s_or_b64 exec, exec, s[26:27]
.LBB38_34:                              ;   in Loop: Header=BB38_4 Depth=1
	s_or_b64 exec, exec, s[2:3]
	s_waitcnt lgkmcnt(0)
	s_barrier
	ds_read_b128 v[5:8], v14
	s_waitcnt lgkmcnt(0)
	v_add_f64 v[5:6], v[1:2], v[5:6]
	v_add_f64 v[7:8], v[3:4], v[7:8]
	v_mov_b32_e32 v3, 0
	v_mov_b32_e32 v1, 0
	;; [unrolled: 1-line block ×4, first 2 shown]
	ds_write_b128 v14, v[5:8]
	s_waitcnt lgkmcnt(0)
	s_barrier
	s_and_saveexec_b64 s[2:3], s[14:15]
	s_cbranch_execz .LBB38_38
; %bb.35:                               ;   in Loop: Header=BB38_4 Depth=1
	ds_read_b64 v[3:4], v13
	ds_read_b64 v[5:6], v23
	v_mov_b32_e32 v1, 0
	v_mov_b32_e32 v2, 0
	s_waitcnt lgkmcnt(0)
	v_cmp_eq_u64_e32 vcc, v[3:4], v[5:6]
	v_mov_b32_e32 v3, 0
	v_mov_b32_e32 v4, 0
	s_and_saveexec_b64 s[26:27], vcc
; %bb.36:                               ;   in Loop: Header=BB38_4 Depth=1
	ds_read_b128 v[1:4], v27
; %bb.37:                               ;   in Loop: Header=BB38_4 Depth=1
	s_or_b64 exec, exec, s[26:27]
.LBB38_38:                              ;   in Loop: Header=BB38_4 Depth=1
	s_or_b64 exec, exec, s[2:3]
	s_waitcnt lgkmcnt(0)
	s_barrier
	ds_read_b128 v[5:8], v14
	s_waitcnt lgkmcnt(0)
	v_add_f64 v[1:2], v[1:2], v[5:6]
	v_add_f64 v[3:4], v[3:4], v[7:8]
	ds_write_b128 v14, v[1:4]
	s_waitcnt lgkmcnt(0)
	s_barrier
	ds_read_b64 v[1:2], v13
	v_mov_b32_e32 v3, -1
	v_mov_b32_e32 v4, -1
	s_and_saveexec_b64 s[2:3], s[0:1]
; %bb.39:                               ;   in Loop: Header=BB38_4 Depth=1
	ds_read_b64 v[3:4], v13 offset:8
; %bb.40:                               ;   in Loop: Header=BB38_4 Depth=1
	s_or_b64 exec, exec, s[2:3]
	s_waitcnt lgkmcnt(0)
	v_cmp_ne_u64_e32 vcc, v[1:2], v[3:4]
	v_cmp_lt_i64_e64 s[2:3], -1, v[1:2]
	s_and_b64 s[26:27], s[2:3], vcc
	s_and_saveexec_b64 s[2:3], s[26:27]
	s_cbranch_execz .LBB38_3
; %bb.41:                               ;   in Loop: Header=BB38_4 Depth=1
	v_lshlrev_b64 v[1:2], 4, v[1:2]
	v_mov_b32_e32 v3, s7
	v_add_co_u32_e32 v28, vcc, s6, v1
	v_addc_co_u32_e32 v29, vcc, v3, v2, vcc
	global_load_dwordx4 v[1:4], v[28:29], off
	ds_read_b128 v[5:8], v14
	s_waitcnt vmcnt(0) lgkmcnt(0)
	v_add_f64 v[1:2], v[5:6], v[1:2]
	v_add_f64 v[3:4], v[7:8], v[3:4]
	global_store_dwordx4 v[28:29], v[1:4], off
	s_branch .LBB38_3
.LBB38_42:
	s_endpgm
	.section	.rodata,"a",@progbits
	.p2align	6, 0x0
	.amdhsa_kernel _ZN9rocsparseL29coomvn_segmented_loops_reduceILj256El21rocsparse_complex_numIdES2_EEvT0_NS_24const_host_device_scalarIT2_EEPKS3_PKS5_PT1_b
		.amdhsa_group_segment_fixed_size 6144
		.amdhsa_private_segment_fixed_size 0
		.amdhsa_kernarg_size 52
		.amdhsa_user_sgpr_count 6
		.amdhsa_user_sgpr_private_segment_buffer 1
		.amdhsa_user_sgpr_dispatch_ptr 0
		.amdhsa_user_sgpr_queue_ptr 0
		.amdhsa_user_sgpr_kernarg_segment_ptr 1
		.amdhsa_user_sgpr_dispatch_id 0
		.amdhsa_user_sgpr_flat_scratch_init 0
		.amdhsa_user_sgpr_private_segment_size 0
		.amdhsa_uses_dynamic_stack 0
		.amdhsa_system_sgpr_private_segment_wavefront_offset 0
		.amdhsa_system_sgpr_workgroup_id_x 1
		.amdhsa_system_sgpr_workgroup_id_y 0
		.amdhsa_system_sgpr_workgroup_id_z 0
		.amdhsa_system_sgpr_workgroup_info 0
		.amdhsa_system_vgpr_workitem_id 0
		.amdhsa_next_free_vgpr 32
		.amdhsa_next_free_sgpr 28
		.amdhsa_reserve_vcc 1
		.amdhsa_reserve_flat_scratch 0
		.amdhsa_float_round_mode_32 0
		.amdhsa_float_round_mode_16_64 0
		.amdhsa_float_denorm_mode_32 3
		.amdhsa_float_denorm_mode_16_64 3
		.amdhsa_dx10_clamp 1
		.amdhsa_ieee_mode 1
		.amdhsa_fp16_overflow 0
		.amdhsa_exception_fp_ieee_invalid_op 0
		.amdhsa_exception_fp_denorm_src 0
		.amdhsa_exception_fp_ieee_div_zero 0
		.amdhsa_exception_fp_ieee_overflow 0
		.amdhsa_exception_fp_ieee_underflow 0
		.amdhsa_exception_fp_ieee_inexact 0
		.amdhsa_exception_int_div_zero 0
	.end_amdhsa_kernel
	.section	.text._ZN9rocsparseL29coomvn_segmented_loops_reduceILj256El21rocsparse_complex_numIdES2_EEvT0_NS_24const_host_device_scalarIT2_EEPKS3_PKS5_PT1_b,"axG",@progbits,_ZN9rocsparseL29coomvn_segmented_loops_reduceILj256El21rocsparse_complex_numIdES2_EEvT0_NS_24const_host_device_scalarIT2_EEPKS3_PKS5_PT1_b,comdat
.Lfunc_end38:
	.size	_ZN9rocsparseL29coomvn_segmented_loops_reduceILj256El21rocsparse_complex_numIdES2_EEvT0_NS_24const_host_device_scalarIT2_EEPKS3_PKS5_PT1_b, .Lfunc_end38-_ZN9rocsparseL29coomvn_segmented_loops_reduceILj256El21rocsparse_complex_numIdES2_EEvT0_NS_24const_host_device_scalarIT2_EEPKS3_PKS5_PT1_b
                                        ; -- End function
	.set _ZN9rocsparseL29coomvn_segmented_loops_reduceILj256El21rocsparse_complex_numIdES2_EEvT0_NS_24const_host_device_scalarIT2_EEPKS3_PKS5_PT1_b.num_vgpr, 32
	.set _ZN9rocsparseL29coomvn_segmented_loops_reduceILj256El21rocsparse_complex_numIdES2_EEvT0_NS_24const_host_device_scalarIT2_EEPKS3_PKS5_PT1_b.num_agpr, 0
	.set _ZN9rocsparseL29coomvn_segmented_loops_reduceILj256El21rocsparse_complex_numIdES2_EEvT0_NS_24const_host_device_scalarIT2_EEPKS3_PKS5_PT1_b.numbered_sgpr, 28
	.set _ZN9rocsparseL29coomvn_segmented_loops_reduceILj256El21rocsparse_complex_numIdES2_EEvT0_NS_24const_host_device_scalarIT2_EEPKS3_PKS5_PT1_b.num_named_barrier, 0
	.set _ZN9rocsparseL29coomvn_segmented_loops_reduceILj256El21rocsparse_complex_numIdES2_EEvT0_NS_24const_host_device_scalarIT2_EEPKS3_PKS5_PT1_b.private_seg_size, 0
	.set _ZN9rocsparseL29coomvn_segmented_loops_reduceILj256El21rocsparse_complex_numIdES2_EEvT0_NS_24const_host_device_scalarIT2_EEPKS3_PKS5_PT1_b.uses_vcc, 1
	.set _ZN9rocsparseL29coomvn_segmented_loops_reduceILj256El21rocsparse_complex_numIdES2_EEvT0_NS_24const_host_device_scalarIT2_EEPKS3_PKS5_PT1_b.uses_flat_scratch, 0
	.set _ZN9rocsparseL29coomvn_segmented_loops_reduceILj256El21rocsparse_complex_numIdES2_EEvT0_NS_24const_host_device_scalarIT2_EEPKS3_PKS5_PT1_b.has_dyn_sized_stack, 0
	.set _ZN9rocsparseL29coomvn_segmented_loops_reduceILj256El21rocsparse_complex_numIdES2_EEvT0_NS_24const_host_device_scalarIT2_EEPKS3_PKS5_PT1_b.has_recursion, 0
	.set _ZN9rocsparseL29coomvn_segmented_loops_reduceILj256El21rocsparse_complex_numIdES2_EEvT0_NS_24const_host_device_scalarIT2_EEPKS3_PKS5_PT1_b.has_indirect_call, 0
	.section	.AMDGPU.csdata,"",@progbits
; Kernel info:
; codeLenInByte = 1792
; TotalNumSgprs: 32
; NumVgprs: 32
; ScratchSize: 0
; MemoryBound: 1
; FloatMode: 240
; IeeeMode: 1
; LDSByteSize: 6144 bytes/workgroup (compile time only)
; SGPRBlocks: 3
; VGPRBlocks: 7
; NumSGPRsForWavesPerEU: 32
; NumVGPRsForWavesPerEU: 32
; Occupancy: 8
; WaveLimiterHint : 0
; COMPUTE_PGM_RSRC2:SCRATCH_EN: 0
; COMPUTE_PGM_RSRC2:USER_SGPR: 6
; COMPUTE_PGM_RSRC2:TRAP_HANDLER: 0
; COMPUTE_PGM_RSRC2:TGID_X_EN: 1
; COMPUTE_PGM_RSRC2:TGID_Y_EN: 0
; COMPUTE_PGM_RSRC2:TGID_Z_EN: 0
; COMPUTE_PGM_RSRC2:TIDIG_COMP_CNT: 0
	.section	.text._ZN9rocsparseL13coomvt_kernelILj1024El21rocsparse_complex_numIdES2_S2_S2_EEv20rocsparse_operation_lNS_24const_host_device_scalarIT4_EEPKT0_S9_PKT1_PKT2_PT3_21rocsparse_index_base_b,"axG",@progbits,_ZN9rocsparseL13coomvt_kernelILj1024El21rocsparse_complex_numIdES2_S2_S2_EEv20rocsparse_operation_lNS_24const_host_device_scalarIT4_EEPKT0_S9_PKT1_PKT2_PT3_21rocsparse_index_base_b,comdat
	.globl	_ZN9rocsparseL13coomvt_kernelILj1024El21rocsparse_complex_numIdES2_S2_S2_EEv20rocsparse_operation_lNS_24const_host_device_scalarIT4_EEPKT0_S9_PKT1_PKT2_PT3_21rocsparse_index_base_b ; -- Begin function _ZN9rocsparseL13coomvt_kernelILj1024El21rocsparse_complex_numIdES2_S2_S2_EEv20rocsparse_operation_lNS_24const_host_device_scalarIT4_EEPKT0_S9_PKT1_PKT2_PT3_21rocsparse_index_base_b
	.p2align	8
	.type	_ZN9rocsparseL13coomvt_kernelILj1024El21rocsparse_complex_numIdES2_S2_S2_EEv20rocsparse_operation_lNS_24const_host_device_scalarIT4_EEPKT0_S9_PKT1_PKT2_PT3_21rocsparse_index_base_b,@function
_ZN9rocsparseL13coomvt_kernelILj1024El21rocsparse_complex_numIdES2_S2_S2_EEv20rocsparse_operation_lNS_24const_host_device_scalarIT4_EEPKT0_S9_PKT1_PKT2_PT3_21rocsparse_index_base_b: ; @_ZN9rocsparseL13coomvt_kernelILj1024El21rocsparse_complex_numIdES2_S2_S2_EEv20rocsparse_operation_lNS_24const_host_device_scalarIT4_EEPKT0_S9_PKT1_PKT2_PT3_21rocsparse_index_base_b
; %bb.0:
	s_load_dwordx2 s[2:3], s[4:5], 0x48
	s_load_dwordx4 s[8:11], s[4:5], 0x8
	s_add_u32 s0, s4, 16
	s_addc_u32 s1, s5, 0
	s_waitcnt lgkmcnt(0)
	s_bitcmp1_b32 s3, 0
	s_cselect_b32 s1, s1, s11
	s_cselect_b32 s0, s0, s10
	v_mov_b32_e32 v1, s0
	v_mov_b32_e32 v2, s1
	flat_load_dwordx4 v[1:4], v[1:2]
	s_waitcnt vmcnt(0) lgkmcnt(0)
	v_cmp_neq_f64_e32 vcc, 0, v[1:2]
	v_cmp_neq_f64_e64 s[0:1], 0, v[3:4]
	s_or_b64 s[0:1], vcc, s[0:1]
	s_and_saveexec_b64 s[10:11], s[0:1]
	s_cbranch_execz .LBB39_6
; %bb.1:
	s_load_dword s0, s[4:5], 0x5c
	v_mov_b32_e32 v6, 0
	s_waitcnt lgkmcnt(0)
	s_and_b32 s0, s0, 0xffff
	s_mul_i32 s6, s6, s0
	v_add_u32_e32 v5, s6, v0
	v_cmp_gt_i64_e32 vcc, s[8:9], v[5:6]
	s_and_b64 exec, exec, vcc
	s_cbranch_execz .LBB39_6
; %bb.2:
	s_load_dwordx8 s[8:15], s[4:5], 0x20
	v_lshlrev_b64 v[7:8], 3, v[5:6]
	v_lshlrev_b64 v[5:6], 4, v[5:6]
	s_waitcnt lgkmcnt(0)
	v_mov_b32_e32 v0, s9
	v_add_co_u32_e32 v9, vcc, s8, v7
	v_addc_co_u32_e32 v10, vcc, v0, v8, vcc
	global_load_dwordx2 v[9:10], v[9:10], off
	v_mov_b32_e32 v0, s11
	v_add_co_u32_e32 v7, vcc, s10, v7
	v_addc_co_u32_e32 v8, vcc, v0, v8, vcc
	global_load_dwordx2 v[7:8], v[7:8], off
	v_mov_b32_e32 v0, s13
	v_add_co_u32_e32 v5, vcc, s12, v5
	v_addc_co_u32_e32 v6, vcc, v0, v6, vcc
	global_load_dwordx4 v[13:16], v[5:6], off
	s_load_dword s3, s[4:5], 0x0
	s_load_dwordx2 s[0:1], s[4:5], 0x40
	v_mov_b32_e32 v0, s15
	s_waitcnt lgkmcnt(0)
	s_cmpk_eq_i32 s3, 0x71
	s_waitcnt vmcnt(2)
	v_subrev_co_u32_e32 v5, vcc, s2, v9
	v_subbrev_co_u32_e32 v6, vcc, 0, v10, vcc
	v_lshlrev_b64 v[5:6], 4, v[5:6]
	s_waitcnt vmcnt(1)
	v_subrev_co_u32_e32 v7, vcc, s2, v7
	v_subbrev_co_u32_e32 v8, vcc, 0, v8, vcc
	s_cselect_b64 vcc, -1, 0
	s_waitcnt vmcnt(0)
	v_xor_b32_e32 v9, 0x80000000, v16
	v_cndmask_b32_e32 v16, v16, v9, vcc
	v_add_co_u32_e32 v5, vcc, s14, v5
	v_addc_co_u32_e32 v6, vcc, v0, v6, vcc
	v_lshlrev_b64 v[9:10], 4, v[7:8]
	global_load_dwordx4 v[5:8], v[5:6], off
	v_mul_f64 v[11:12], v[15:16], -v[3:4]
	v_mul_f64 v[15:16], v[1:2], v[15:16]
	v_mov_b32_e32 v0, s1
	v_add_co_u32_e32 v9, vcc, s0, v9
	v_addc_co_u32_e32 v10, vcc, v0, v10, vcc
	s_mov_b64 s[0:1], 0
	v_fma_f64 v[11:12], v[1:2], v[13:14], v[11:12]
	v_fma_f64 v[13:14], v[3:4], v[13:14], v[15:16]
	global_load_dwordx2 v[2:3], v[9:10], off
	s_waitcnt vmcnt(1)
	v_mul_f64 v[0:1], v[7:8], -v[13:14]
	v_fma_f64 v[15:16], v[11:12], v[5:6], v[0:1]
.LBB39_3:                               ; =>This Inner Loop Header: Depth=1
	s_waitcnt vmcnt(0)
	v_add_f64 v[0:1], v[2:3], v[15:16]
	global_atomic_cmpswap_x2 v[0:1], v[9:10], v[0:3], off glc
	s_waitcnt vmcnt(0)
	v_cmp_eq_u64_e32 vcc, v[0:1], v[2:3]
	v_mov_b32_e32 v3, v1
	s_or_b64 s[0:1], vcc, s[0:1]
	v_mov_b32_e32 v2, v0
	s_andn2_b64 exec, exec, s[0:1]
	s_cbranch_execnz .LBB39_3
; %bb.4:
	s_or_b64 exec, exec, s[0:1]
	global_load_dwordx2 v[2:3], v[9:10], off offset:8
	v_mul_f64 v[0:1], v[11:12], v[7:8]
	s_mov_b64 s[0:1], 0
	v_fma_f64 v[4:5], v[13:14], v[5:6], v[0:1]
.LBB39_5:                               ; =>This Inner Loop Header: Depth=1
	s_waitcnt vmcnt(0)
	v_add_f64 v[0:1], v[2:3], v[4:5]
	global_atomic_cmpswap_x2 v[0:1], v[9:10], v[0:3], off offset:8 glc
	s_waitcnt vmcnt(0)
	v_cmp_eq_u64_e32 vcc, v[0:1], v[2:3]
	v_mov_b32_e32 v3, v1
	s_or_b64 s[0:1], vcc, s[0:1]
	v_mov_b32_e32 v2, v0
	s_andn2_b64 exec, exec, s[0:1]
	s_cbranch_execnz .LBB39_5
.LBB39_6:
	s_endpgm
	.section	.rodata,"a",@progbits
	.p2align	6, 0x0
	.amdhsa_kernel _ZN9rocsparseL13coomvt_kernelILj1024El21rocsparse_complex_numIdES2_S2_S2_EEv20rocsparse_operation_lNS_24const_host_device_scalarIT4_EEPKT0_S9_PKT1_PKT2_PT3_21rocsparse_index_base_b
		.amdhsa_group_segment_fixed_size 0
		.amdhsa_private_segment_fixed_size 0
		.amdhsa_kernarg_size 336
		.amdhsa_user_sgpr_count 6
		.amdhsa_user_sgpr_private_segment_buffer 1
		.amdhsa_user_sgpr_dispatch_ptr 0
		.amdhsa_user_sgpr_queue_ptr 0
		.amdhsa_user_sgpr_kernarg_segment_ptr 1
		.amdhsa_user_sgpr_dispatch_id 0
		.amdhsa_user_sgpr_flat_scratch_init 0
		.amdhsa_user_sgpr_private_segment_size 0
		.amdhsa_uses_dynamic_stack 0
		.amdhsa_system_sgpr_private_segment_wavefront_offset 0
		.amdhsa_system_sgpr_workgroup_id_x 1
		.amdhsa_system_sgpr_workgroup_id_y 0
		.amdhsa_system_sgpr_workgroup_id_z 0
		.amdhsa_system_sgpr_workgroup_info 0
		.amdhsa_system_vgpr_workitem_id 0
		.amdhsa_next_free_vgpr 17
		.amdhsa_next_free_sgpr 16
		.amdhsa_reserve_vcc 1
		.amdhsa_reserve_flat_scratch 0
		.amdhsa_float_round_mode_32 0
		.amdhsa_float_round_mode_16_64 0
		.amdhsa_float_denorm_mode_32 3
		.amdhsa_float_denorm_mode_16_64 3
		.amdhsa_dx10_clamp 1
		.amdhsa_ieee_mode 1
		.amdhsa_fp16_overflow 0
		.amdhsa_exception_fp_ieee_invalid_op 0
		.amdhsa_exception_fp_denorm_src 0
		.amdhsa_exception_fp_ieee_div_zero 0
		.amdhsa_exception_fp_ieee_overflow 0
		.amdhsa_exception_fp_ieee_underflow 0
		.amdhsa_exception_fp_ieee_inexact 0
		.amdhsa_exception_int_div_zero 0
	.end_amdhsa_kernel
	.section	.text._ZN9rocsparseL13coomvt_kernelILj1024El21rocsparse_complex_numIdES2_S2_S2_EEv20rocsparse_operation_lNS_24const_host_device_scalarIT4_EEPKT0_S9_PKT1_PKT2_PT3_21rocsparse_index_base_b,"axG",@progbits,_ZN9rocsparseL13coomvt_kernelILj1024El21rocsparse_complex_numIdES2_S2_S2_EEv20rocsparse_operation_lNS_24const_host_device_scalarIT4_EEPKT0_S9_PKT1_PKT2_PT3_21rocsparse_index_base_b,comdat
.Lfunc_end39:
	.size	_ZN9rocsparseL13coomvt_kernelILj1024El21rocsparse_complex_numIdES2_S2_S2_EEv20rocsparse_operation_lNS_24const_host_device_scalarIT4_EEPKT0_S9_PKT1_PKT2_PT3_21rocsparse_index_base_b, .Lfunc_end39-_ZN9rocsparseL13coomvt_kernelILj1024El21rocsparse_complex_numIdES2_S2_S2_EEv20rocsparse_operation_lNS_24const_host_device_scalarIT4_EEPKT0_S9_PKT1_PKT2_PT3_21rocsparse_index_base_b
                                        ; -- End function
	.set _ZN9rocsparseL13coomvt_kernelILj1024El21rocsparse_complex_numIdES2_S2_S2_EEv20rocsparse_operation_lNS_24const_host_device_scalarIT4_EEPKT0_S9_PKT1_PKT2_PT3_21rocsparse_index_base_b.num_vgpr, 17
	.set _ZN9rocsparseL13coomvt_kernelILj1024El21rocsparse_complex_numIdES2_S2_S2_EEv20rocsparse_operation_lNS_24const_host_device_scalarIT4_EEPKT0_S9_PKT1_PKT2_PT3_21rocsparse_index_base_b.num_agpr, 0
	.set _ZN9rocsparseL13coomvt_kernelILj1024El21rocsparse_complex_numIdES2_S2_S2_EEv20rocsparse_operation_lNS_24const_host_device_scalarIT4_EEPKT0_S9_PKT1_PKT2_PT3_21rocsparse_index_base_b.numbered_sgpr, 16
	.set _ZN9rocsparseL13coomvt_kernelILj1024El21rocsparse_complex_numIdES2_S2_S2_EEv20rocsparse_operation_lNS_24const_host_device_scalarIT4_EEPKT0_S9_PKT1_PKT2_PT3_21rocsparse_index_base_b.num_named_barrier, 0
	.set _ZN9rocsparseL13coomvt_kernelILj1024El21rocsparse_complex_numIdES2_S2_S2_EEv20rocsparse_operation_lNS_24const_host_device_scalarIT4_EEPKT0_S9_PKT1_PKT2_PT3_21rocsparse_index_base_b.private_seg_size, 0
	.set _ZN9rocsparseL13coomvt_kernelILj1024El21rocsparse_complex_numIdES2_S2_S2_EEv20rocsparse_operation_lNS_24const_host_device_scalarIT4_EEPKT0_S9_PKT1_PKT2_PT3_21rocsparse_index_base_b.uses_vcc, 1
	.set _ZN9rocsparseL13coomvt_kernelILj1024El21rocsparse_complex_numIdES2_S2_S2_EEv20rocsparse_operation_lNS_24const_host_device_scalarIT4_EEPKT0_S9_PKT1_PKT2_PT3_21rocsparse_index_base_b.uses_flat_scratch, 0
	.set _ZN9rocsparseL13coomvt_kernelILj1024El21rocsparse_complex_numIdES2_S2_S2_EEv20rocsparse_operation_lNS_24const_host_device_scalarIT4_EEPKT0_S9_PKT1_PKT2_PT3_21rocsparse_index_base_b.has_dyn_sized_stack, 0
	.set _ZN9rocsparseL13coomvt_kernelILj1024El21rocsparse_complex_numIdES2_S2_S2_EEv20rocsparse_operation_lNS_24const_host_device_scalarIT4_EEPKT0_S9_PKT1_PKT2_PT3_21rocsparse_index_base_b.has_recursion, 0
	.set _ZN9rocsparseL13coomvt_kernelILj1024El21rocsparse_complex_numIdES2_S2_S2_EEv20rocsparse_operation_lNS_24const_host_device_scalarIT4_EEPKT0_S9_PKT1_PKT2_PT3_21rocsparse_index_base_b.has_indirect_call, 0
	.section	.AMDGPU.csdata,"",@progbits
; Kernel info:
; codeLenInByte = 528
; TotalNumSgprs: 20
; NumVgprs: 17
; ScratchSize: 0
; MemoryBound: 0
; FloatMode: 240
; IeeeMode: 1
; LDSByteSize: 0 bytes/workgroup (compile time only)
; SGPRBlocks: 2
; VGPRBlocks: 4
; NumSGPRsForWavesPerEU: 20
; NumVGPRsForWavesPerEU: 17
; Occupancy: 10
; WaveLimiterHint : 1
; COMPUTE_PGM_RSRC2:SCRATCH_EN: 0
; COMPUTE_PGM_RSRC2:USER_SGPR: 6
; COMPUTE_PGM_RSRC2:TRAP_HANDLER: 0
; COMPUTE_PGM_RSRC2:TGID_X_EN: 1
; COMPUTE_PGM_RSRC2:TGID_Y_EN: 0
; COMPUTE_PGM_RSRC2:TGID_Z_EN: 0
; COMPUTE_PGM_RSRC2:TIDIG_COMP_CNT: 0
	.section	.text._ZN9rocsparseL19coomvn_atomic_loopsILj256ELj1El21rocsparse_complex_numIdES2_S2_S2_EEvlNS_24const_host_device_scalarIT5_EEPKT1_S8_PKT2_PKT3_PT4_21rocsparse_index_base_b,"axG",@progbits,_ZN9rocsparseL19coomvn_atomic_loopsILj256ELj1El21rocsparse_complex_numIdES2_S2_S2_EEvlNS_24const_host_device_scalarIT5_EEPKT1_S8_PKT2_PKT3_PT4_21rocsparse_index_base_b,comdat
	.globl	_ZN9rocsparseL19coomvn_atomic_loopsILj256ELj1El21rocsparse_complex_numIdES2_S2_S2_EEvlNS_24const_host_device_scalarIT5_EEPKT1_S8_PKT2_PKT3_PT4_21rocsparse_index_base_b ; -- Begin function _ZN9rocsparseL19coomvn_atomic_loopsILj256ELj1El21rocsparse_complex_numIdES2_S2_S2_EEvlNS_24const_host_device_scalarIT5_EEPKT1_S8_PKT2_PKT3_PT4_21rocsparse_index_base_b
	.p2align	8
	.type	_ZN9rocsparseL19coomvn_atomic_loopsILj256ELj1El21rocsparse_complex_numIdES2_S2_S2_EEvlNS_24const_host_device_scalarIT5_EEPKT1_S8_PKT2_PKT3_PT4_21rocsparse_index_base_b,@function
_ZN9rocsparseL19coomvn_atomic_loopsILj256ELj1El21rocsparse_complex_numIdES2_S2_S2_EEvlNS_24const_host_device_scalarIT5_EEPKT1_S8_PKT2_PKT3_PT4_21rocsparse_index_base_b: ; @_ZN9rocsparseL19coomvn_atomic_loopsILj256ELj1El21rocsparse_complex_numIdES2_S2_S2_EEvlNS_24const_host_device_scalarIT5_EEPKT1_S8_PKT2_PKT3_PT4_21rocsparse_index_base_b
; %bb.0:
	s_load_dwordx2 s[2:3], s[4:5], 0x40
	s_load_dwordx4 s[8:11], s[4:5], 0x0
	s_or_b32 s0, s4, 8
	s_waitcnt lgkmcnt(0)
	s_bitcmp1_b32 s3, 0
	s_cselect_b32 s1, s5, s11
	s_cselect_b32 s0, s0, s10
	v_mov_b32_e32 v1, s0
	v_mov_b32_e32 v2, s1
	flat_load_dwordx4 v[1:4], v[1:2]
	s_waitcnt vmcnt(0) lgkmcnt(0)
	v_cmp_neq_f64_e32 vcc, 0, v[1:2]
	v_cmp_neq_f64_e64 s[0:1], 0, v[3:4]
	s_or_b64 s[0:1], vcc, s[0:1]
	s_and_saveexec_b64 s[10:11], s[0:1]
	s_cbranch_execz .LBB40_46
; %bb.1:
	v_mov_b32_e32 v5, 0
	v_lshl_or_b32 v9, s6, 8, v0
	v_mov_b32_e32 v10, 0
	v_mov_b32_e32 v6, 0
	v_cmp_gt_i64_e32 vcc, s[8:9], v[9:10]
	v_mov_b32_e32 v13, -1
	v_mov_b32_e32 v8, v6
	v_mov_b32_e32 v14, -1
	v_mov_b32_e32 v7, v5
	s_and_saveexec_b64 s[0:1], vcc
	s_cbranch_execz .LBB40_3
; %bb.2:
	s_load_dwordx8 s[8:15], s[4:5], 0x18
	v_lshlrev_b64 v[13:14], 3, v[9:10]
	s_waitcnt lgkmcnt(0)
	v_mov_b32_e32 v6, s11
	v_add_co_u32_e32 v5, vcc, s10, v13
	v_addc_co_u32_e32 v6, vcc, v6, v14, vcc
	global_load_dwordx2 v[11:12], v[5:6], off glc slc
	v_lshlrev_b64 v[5:6], 4, v[9:10]
	v_mov_b32_e32 v7, s13
	v_add_co_u32_e32 v5, vcc, s12, v5
	v_addc_co_u32_e32 v6, vcc, v7, v6, vcc
	v_mov_b32_e32 v15, s15
	global_load_dwordx4 v[5:8], v[5:6], off glc slc
	s_waitcnt vmcnt(1)
	v_subrev_co_u32_e32 v9, vcc, s2, v11
	v_subbrev_co_u32_e32 v10, vcc, 0, v12, vcc
	v_lshlrev_b64 v[9:10], 4, v[9:10]
	v_add_co_u32_e32 v9, vcc, s14, v9
	v_addc_co_u32_e32 v10, vcc, v15, v10, vcc
	global_load_dwordx4 v[9:12], v[9:10], off
	v_mov_b32_e32 v15, s9
	v_add_co_u32_e32 v13, vcc, s8, v13
	v_addc_co_u32_e32 v14, vcc, v15, v14, vcc
	global_load_dwordx2 v[13:14], v[13:14], off glc slc
	s_waitcnt vmcnt(1)
	v_mul_f64 v[15:16], v[11:12], -v[7:8]
	v_mul_f64 v[11:12], v[5:6], v[11:12]
	s_waitcnt vmcnt(0)
	v_subrev_co_u32_e32 v13, vcc, s2, v13
	v_fma_f64 v[5:6], v[5:6], v[9:10], v[15:16]
	v_fma_f64 v[7:8], v[7:8], v[9:10], v[11:12]
	v_subbrev_co_u32_e32 v14, vcc, 0, v14, vcc
.LBB40_3:
	s_or_b64 exec, exec, s[0:1]
	v_lshlrev_b32_e32 v10, 3, v0
	v_or_b32_e32 v9, 0x1000, v10
	ds_write_b64 v10, v[13:14] offset:4096
	v_lshlrev_b32_e32 v10, 4, v0
	v_cmp_ne_u32_e32 vcc, 0, v0
	ds_write_b128 v10, v[5:8]
	s_waitcnt lgkmcnt(0)
	s_barrier
	s_and_saveexec_b64 s[0:1], vcc
	s_cbranch_execz .LBB40_7
; %bb.4:
	v_add_u32_e32 v11, -8, v9
	ds_read_b64 v[11:12], v11
	s_waitcnt lgkmcnt(0)
	v_cmp_eq_u64_e32 vcc, v[13:14], v[11:12]
	s_and_saveexec_b64 s[2:3], vcc
	s_cbranch_execz .LBB40_6
; %bb.5:
	v_add_u32_e32 v11, -16, v10
	ds_read_b128 v[15:18], v11
	s_waitcnt lgkmcnt(0)
	v_add_f64 v[5:6], v[5:6], v[15:16]
	v_add_f64 v[7:8], v[7:8], v[17:18]
.LBB40_6:
	s_or_b64 exec, exec, s[2:3]
.LBB40_7:
	s_or_b64 exec, exec, s[0:1]
	v_cmp_lt_u32_e32 vcc, 1, v0
	s_barrier
	ds_write_b128 v10, v[5:8]
	s_waitcnt lgkmcnt(0)
	s_barrier
	s_and_saveexec_b64 s[0:1], vcc
	s_cbranch_execz .LBB40_11
; %bb.8:
	v_add_u32_e32 v11, -16, v9
	ds_read_b64 v[11:12], v11
	s_waitcnt lgkmcnt(0)
	v_cmp_eq_u64_e32 vcc, v[13:14], v[11:12]
	s_and_saveexec_b64 s[2:3], vcc
	s_cbranch_execz .LBB40_10
; %bb.9:
	v_subrev_u32_e32 v11, 32, v10
	ds_read_b128 v[15:18], v11
	s_waitcnt lgkmcnt(0)
	v_add_f64 v[5:6], v[5:6], v[15:16]
	v_add_f64 v[7:8], v[7:8], v[17:18]
.LBB40_10:
	s_or_b64 exec, exec, s[2:3]
.LBB40_11:
	s_or_b64 exec, exec, s[0:1]
	v_cmp_lt_u32_e32 vcc, 3, v0
	s_barrier
	ds_write_b128 v10, v[5:8]
	s_waitcnt lgkmcnt(0)
	s_barrier
	s_and_saveexec_b64 s[0:1], vcc
	s_cbranch_execz .LBB40_15
; %bb.12:
	v_subrev_u32_e32 v11, 32, v9
	ds_read_b64 v[11:12], v11
	s_waitcnt lgkmcnt(0)
	v_cmp_eq_u64_e32 vcc, v[13:14], v[11:12]
	s_and_saveexec_b64 s[2:3], vcc
	s_cbranch_execz .LBB40_14
; %bb.13:
	v_subrev_u32_e32 v11, 64, v10
	ds_read_b128 v[15:18], v11
	s_waitcnt lgkmcnt(0)
	v_add_f64 v[5:6], v[5:6], v[15:16]
	v_add_f64 v[7:8], v[7:8], v[17:18]
.LBB40_14:
	s_or_b64 exec, exec, s[2:3]
.LBB40_15:
	s_or_b64 exec, exec, s[0:1]
	v_cmp_lt_u32_e32 vcc, 7, v0
	s_barrier
	ds_write_b128 v10, v[5:8]
	s_waitcnt lgkmcnt(0)
	s_barrier
	s_and_saveexec_b64 s[0:1], vcc
	s_cbranch_execz .LBB40_19
; %bb.16:
	v_subrev_u32_e32 v11, 64, v9
	ds_read_b64 v[11:12], v11
	s_waitcnt lgkmcnt(0)
	v_cmp_eq_u64_e32 vcc, v[13:14], v[11:12]
	s_and_saveexec_b64 s[2:3], vcc
	s_cbranch_execz .LBB40_18
; %bb.17:
	v_add_u32_e32 v11, 0xffffff80, v10
	ds_read_b128 v[15:18], v11
	s_waitcnt lgkmcnt(0)
	v_add_f64 v[5:6], v[5:6], v[15:16]
	v_add_f64 v[7:8], v[7:8], v[17:18]
.LBB40_18:
	s_or_b64 exec, exec, s[2:3]
.LBB40_19:
	s_or_b64 exec, exec, s[0:1]
	v_cmp_lt_u32_e32 vcc, 15, v0
	s_barrier
	ds_write_b128 v10, v[5:8]
	s_waitcnt lgkmcnt(0)
	s_barrier
	s_and_saveexec_b64 s[0:1], vcc
	s_cbranch_execz .LBB40_23
; %bb.20:
	v_add_u32_e32 v11, 0xffffff80, v9
	ds_read_b64 v[11:12], v11
	s_waitcnt lgkmcnt(0)
	v_cmp_eq_u64_e32 vcc, v[13:14], v[11:12]
	s_and_saveexec_b64 s[2:3], vcc
	s_cbranch_execz .LBB40_22
; %bb.21:
	v_add_u32_e32 v11, 0xffffff00, v10
	ds_read_b128 v[15:18], v11
	s_waitcnt lgkmcnt(0)
	v_add_f64 v[5:6], v[5:6], v[15:16]
	v_add_f64 v[7:8], v[7:8], v[17:18]
.LBB40_22:
	s_or_b64 exec, exec, s[2:3]
.LBB40_23:
	s_or_b64 exec, exec, s[0:1]
	v_cmp_lt_u32_e32 vcc, 31, v0
	s_barrier
	ds_write_b128 v10, v[5:8]
	s_waitcnt lgkmcnt(0)
	s_barrier
	s_and_saveexec_b64 s[0:1], vcc
	s_cbranch_execz .LBB40_27
; %bb.24:
	v_add_u32_e32 v11, 0xffffff00, v9
	ds_read_b64 v[11:12], v11
	s_waitcnt lgkmcnt(0)
	v_cmp_eq_u64_e32 vcc, v[13:14], v[11:12]
	s_and_saveexec_b64 s[2:3], vcc
	s_cbranch_execz .LBB40_26
; %bb.25:
	v_add_u32_e32 v11, 0xfffffe00, v10
	ds_read_b128 v[15:18], v11
	s_waitcnt lgkmcnt(0)
	v_add_f64 v[5:6], v[5:6], v[15:16]
	v_add_f64 v[7:8], v[7:8], v[17:18]
.LBB40_26:
	s_or_b64 exec, exec, s[2:3]
.LBB40_27:
	s_or_b64 exec, exec, s[0:1]
	v_cmp_lt_u32_e32 vcc, 63, v0
	s_barrier
	ds_write_b128 v10, v[5:8]
	s_waitcnt lgkmcnt(0)
	s_barrier
	s_and_saveexec_b64 s[0:1], vcc
	s_cbranch_execz .LBB40_31
; %bb.28:
	v_add_u32_e32 v11, 0xfffffe00, v9
	ds_read_b64 v[11:12], v11
	s_waitcnt lgkmcnt(0)
	v_cmp_eq_u64_e32 vcc, v[13:14], v[11:12]
	s_and_saveexec_b64 s[2:3], vcc
	s_cbranch_execz .LBB40_30
; %bb.29:
	v_add_u32_e32 v11, 0xfffffc00, v10
	ds_read_b128 v[15:18], v11
	s_waitcnt lgkmcnt(0)
	v_add_f64 v[5:6], v[5:6], v[15:16]
	v_add_f64 v[7:8], v[7:8], v[17:18]
.LBB40_30:
	s_or_b64 exec, exec, s[2:3]
.LBB40_31:
	s_or_b64 exec, exec, s[0:1]
	s_load_dwordx2 s[2:3], s[4:5], 0x38
	s_movk_i32 s0, 0x7f
	v_cmp_lt_u32_e32 vcc, s0, v0
	s_waitcnt lgkmcnt(0)
	s_barrier
	ds_write_b128 v10, v[5:8]
	s_waitcnt lgkmcnt(0)
	s_barrier
	s_and_saveexec_b64 s[0:1], vcc
	s_cbranch_execz .LBB40_35
; %bb.32:
	v_add_u32_e32 v11, 0xfffffc00, v9
	ds_read_b64 v[11:12], v11
	s_waitcnt lgkmcnt(0)
	v_cmp_eq_u64_e32 vcc, v[13:14], v[11:12]
	s_and_saveexec_b64 s[4:5], vcc
	s_cbranch_execz .LBB40_34
; %bb.33:
	v_add_u32_e32 v11, 0xfffff800, v10
	ds_read_b128 v[15:18], v11
	s_waitcnt lgkmcnt(0)
	v_add_f64 v[5:6], v[5:6], v[15:16]
	v_add_f64 v[7:8], v[7:8], v[17:18]
.LBB40_34:
	s_or_b64 exec, exec, s[4:5]
.LBB40_35:
	s_or_b64 exec, exec, s[0:1]
	s_movk_i32 s6, 0xff
	v_cmp_gt_u32_e32 vcc, s6, v0
	s_barrier
	ds_write_b128 v10, v[5:8]
	s_waitcnt lgkmcnt(0)
	s_barrier
	s_and_saveexec_b64 s[4:5], vcc
	s_cbranch_execz .LBB40_41
; %bb.36:
	ds_read_b64 v[9:10], v9 offset:8
	v_cmp_lt_i64_e64 s[0:1], -1, v[13:14]
	s_waitcnt lgkmcnt(0)
	v_cmp_ne_u64_e32 vcc, v[13:14], v[9:10]
	s_and_b64 s[0:1], s[0:1], vcc
	s_and_b64 exec, exec, s[0:1]
	s_cbranch_execz .LBB40_41
; %bb.37:
	v_lshlrev_b64 v[9:10], 4, v[13:14]
	v_mov_b32_e32 v11, s3
	v_add_co_u32_e32 v15, vcc, s2, v9
	v_addc_co_u32_e32 v16, vcc, v11, v10, vcc
	global_load_dwordx2 v[11:12], v[15:16], off
	v_mul_f64 v[9:10], v[7:8], -v[3:4]
	s_mov_b64 s[0:1], 0
	v_fma_f64 v[17:18], v[1:2], v[5:6], v[9:10]
.LBB40_38:                              ; =>This Inner Loop Header: Depth=1
	s_waitcnt vmcnt(0)
	v_add_f64 v[9:10], v[11:12], v[17:18]
	global_atomic_cmpswap_x2 v[9:10], v[15:16], v[9:12], off glc
	s_waitcnt vmcnt(0)
	v_cmp_eq_u64_e32 vcc, v[9:10], v[11:12]
	v_mov_b32_e32 v12, v10
	s_or_b64 s[0:1], vcc, s[0:1]
	v_mov_b32_e32 v11, v9
	s_andn2_b64 exec, exec, s[0:1]
	s_cbranch_execnz .LBB40_38
; %bb.39:
	s_or_b64 exec, exec, s[0:1]
	global_load_dwordx2 v[11:12], v[15:16], off offset:8
	v_mul_f64 v[9:10], v[1:2], v[7:8]
	s_mov_b64 s[0:1], 0
	v_fma_f64 v[17:18], v[3:4], v[5:6], v[9:10]
.LBB40_40:                              ; =>This Inner Loop Header: Depth=1
	s_waitcnt vmcnt(0)
	v_add_f64 v[9:10], v[11:12], v[17:18]
	global_atomic_cmpswap_x2 v[9:10], v[15:16], v[9:12], off offset:8 glc
	s_waitcnt vmcnt(0)
	v_cmp_eq_u64_e32 vcc, v[9:10], v[11:12]
	v_mov_b32_e32 v12, v10
	s_or_b64 s[0:1], vcc, s[0:1]
	v_mov_b32_e32 v11, v9
	s_andn2_b64 exec, exec, s[0:1]
	s_cbranch_execnz .LBB40_40
.LBB40_41:
	s_or_b64 exec, exec, s[4:5]
	v_cmp_lt_i64_e32 vcc, -1, v[13:14]
	v_cmp_eq_u32_e64 s[0:1], s6, v0
	s_and_b64 s[0:1], s[0:1], vcc
	s_and_b64 exec, exec, s[0:1]
	s_cbranch_execz .LBB40_46
; %bb.42:
	v_lshlrev_b64 v[9:10], 4, v[13:14]
	v_mov_b32_e32 v0, s3
	v_add_co_u32_e32 v13, vcc, s2, v9
	v_addc_co_u32_e32 v14, vcc, v0, v10, vcc
	global_load_dwordx2 v[11:12], v[13:14], off
	v_mul_f64 v[9:10], v[7:8], -v[3:4]
	s_mov_b64 s[0:1], 0
	v_fma_f64 v[15:16], v[1:2], v[5:6], v[9:10]
.LBB40_43:                              ; =>This Inner Loop Header: Depth=1
	s_waitcnt vmcnt(0)
	v_add_f64 v[9:10], v[11:12], v[15:16]
	global_atomic_cmpswap_x2 v[9:10], v[13:14], v[9:12], off glc
	s_waitcnt vmcnt(0)
	v_cmp_eq_u64_e32 vcc, v[9:10], v[11:12]
	v_mov_b32_e32 v12, v10
	s_or_b64 s[0:1], vcc, s[0:1]
	v_mov_b32_e32 v11, v9
	s_andn2_b64 exec, exec, s[0:1]
	s_cbranch_execnz .LBB40_43
; %bb.44:
	s_or_b64 exec, exec, s[0:1]
	global_load_dwordx2 v[9:10], v[13:14], off offset:8
	v_mul_f64 v[0:1], v[1:2], v[7:8]
	s_mov_b64 s[0:1], 0
	v_fma_f64 v[0:1], v[3:4], v[5:6], v[0:1]
.LBB40_45:                              ; =>This Inner Loop Header: Depth=1
	s_waitcnt vmcnt(0)
	v_add_f64 v[7:8], v[9:10], v[0:1]
	global_atomic_cmpswap_x2 v[2:3], v[13:14], v[7:10], off offset:8 glc
	s_waitcnt vmcnt(0)
	v_cmp_eq_u64_e32 vcc, v[2:3], v[9:10]
	v_mov_b32_e32 v10, v3
	s_or_b64 s[0:1], vcc, s[0:1]
	v_mov_b32_e32 v9, v2
	s_andn2_b64 exec, exec, s[0:1]
	s_cbranch_execnz .LBB40_45
.LBB40_46:
	s_endpgm
	.section	.rodata,"a",@progbits
	.p2align	6, 0x0
	.amdhsa_kernel _ZN9rocsparseL19coomvn_atomic_loopsILj256ELj1El21rocsparse_complex_numIdES2_S2_S2_EEvlNS_24const_host_device_scalarIT5_EEPKT1_S8_PKT2_PKT3_PT4_21rocsparse_index_base_b
		.amdhsa_group_segment_fixed_size 6144
		.amdhsa_private_segment_fixed_size 0
		.amdhsa_kernarg_size 72
		.amdhsa_user_sgpr_count 6
		.amdhsa_user_sgpr_private_segment_buffer 1
		.amdhsa_user_sgpr_dispatch_ptr 0
		.amdhsa_user_sgpr_queue_ptr 0
		.amdhsa_user_sgpr_kernarg_segment_ptr 1
		.amdhsa_user_sgpr_dispatch_id 0
		.amdhsa_user_sgpr_flat_scratch_init 0
		.amdhsa_user_sgpr_private_segment_size 0
		.amdhsa_uses_dynamic_stack 0
		.amdhsa_system_sgpr_private_segment_wavefront_offset 0
		.amdhsa_system_sgpr_workgroup_id_x 1
		.amdhsa_system_sgpr_workgroup_id_y 0
		.amdhsa_system_sgpr_workgroup_id_z 0
		.amdhsa_system_sgpr_workgroup_info 0
		.amdhsa_system_vgpr_workitem_id 0
		.amdhsa_next_free_vgpr 19
		.amdhsa_next_free_sgpr 16
		.amdhsa_reserve_vcc 1
		.amdhsa_reserve_flat_scratch 0
		.amdhsa_float_round_mode_32 0
		.amdhsa_float_round_mode_16_64 0
		.amdhsa_float_denorm_mode_32 3
		.amdhsa_float_denorm_mode_16_64 3
		.amdhsa_dx10_clamp 1
		.amdhsa_ieee_mode 1
		.amdhsa_fp16_overflow 0
		.amdhsa_exception_fp_ieee_invalid_op 0
		.amdhsa_exception_fp_denorm_src 0
		.amdhsa_exception_fp_ieee_div_zero 0
		.amdhsa_exception_fp_ieee_overflow 0
		.amdhsa_exception_fp_ieee_underflow 0
		.amdhsa_exception_fp_ieee_inexact 0
		.amdhsa_exception_int_div_zero 0
	.end_amdhsa_kernel
	.section	.text._ZN9rocsparseL19coomvn_atomic_loopsILj256ELj1El21rocsparse_complex_numIdES2_S2_S2_EEvlNS_24const_host_device_scalarIT5_EEPKT1_S8_PKT2_PKT3_PT4_21rocsparse_index_base_b,"axG",@progbits,_ZN9rocsparseL19coomvn_atomic_loopsILj256ELj1El21rocsparse_complex_numIdES2_S2_S2_EEvlNS_24const_host_device_scalarIT5_EEPKT1_S8_PKT2_PKT3_PT4_21rocsparse_index_base_b,comdat
.Lfunc_end40:
	.size	_ZN9rocsparseL19coomvn_atomic_loopsILj256ELj1El21rocsparse_complex_numIdES2_S2_S2_EEvlNS_24const_host_device_scalarIT5_EEPKT1_S8_PKT2_PKT3_PT4_21rocsparse_index_base_b, .Lfunc_end40-_ZN9rocsparseL19coomvn_atomic_loopsILj256ELj1El21rocsparse_complex_numIdES2_S2_S2_EEvlNS_24const_host_device_scalarIT5_EEPKT1_S8_PKT2_PKT3_PT4_21rocsparse_index_base_b
                                        ; -- End function
	.set _ZN9rocsparseL19coomvn_atomic_loopsILj256ELj1El21rocsparse_complex_numIdES2_S2_S2_EEvlNS_24const_host_device_scalarIT5_EEPKT1_S8_PKT2_PKT3_PT4_21rocsparse_index_base_b.num_vgpr, 19
	.set _ZN9rocsparseL19coomvn_atomic_loopsILj256ELj1El21rocsparse_complex_numIdES2_S2_S2_EEvlNS_24const_host_device_scalarIT5_EEPKT1_S8_PKT2_PKT3_PT4_21rocsparse_index_base_b.num_agpr, 0
	.set _ZN9rocsparseL19coomvn_atomic_loopsILj256ELj1El21rocsparse_complex_numIdES2_S2_S2_EEvlNS_24const_host_device_scalarIT5_EEPKT1_S8_PKT2_PKT3_PT4_21rocsparse_index_base_b.numbered_sgpr, 16
	.set _ZN9rocsparseL19coomvn_atomic_loopsILj256ELj1El21rocsparse_complex_numIdES2_S2_S2_EEvlNS_24const_host_device_scalarIT5_EEPKT1_S8_PKT2_PKT3_PT4_21rocsparse_index_base_b.num_named_barrier, 0
	.set _ZN9rocsparseL19coomvn_atomic_loopsILj256ELj1El21rocsparse_complex_numIdES2_S2_S2_EEvlNS_24const_host_device_scalarIT5_EEPKT1_S8_PKT2_PKT3_PT4_21rocsparse_index_base_b.private_seg_size, 0
	.set _ZN9rocsparseL19coomvn_atomic_loopsILj256ELj1El21rocsparse_complex_numIdES2_S2_S2_EEvlNS_24const_host_device_scalarIT5_EEPKT1_S8_PKT2_PKT3_PT4_21rocsparse_index_base_b.uses_vcc, 1
	.set _ZN9rocsparseL19coomvn_atomic_loopsILj256ELj1El21rocsparse_complex_numIdES2_S2_S2_EEvlNS_24const_host_device_scalarIT5_EEPKT1_S8_PKT2_PKT3_PT4_21rocsparse_index_base_b.uses_flat_scratch, 0
	.set _ZN9rocsparseL19coomvn_atomic_loopsILj256ELj1El21rocsparse_complex_numIdES2_S2_S2_EEvlNS_24const_host_device_scalarIT5_EEPKT1_S8_PKT2_PKT3_PT4_21rocsparse_index_base_b.has_dyn_sized_stack, 0
	.set _ZN9rocsparseL19coomvn_atomic_loopsILj256ELj1El21rocsparse_complex_numIdES2_S2_S2_EEvlNS_24const_host_device_scalarIT5_EEPKT1_S8_PKT2_PKT3_PT4_21rocsparse_index_base_b.has_recursion, 0
	.set _ZN9rocsparseL19coomvn_atomic_loopsILj256ELj1El21rocsparse_complex_numIdES2_S2_S2_EEvlNS_24const_host_device_scalarIT5_EEPKT1_S8_PKT2_PKT3_PT4_21rocsparse_index_base_b.has_indirect_call, 0
	.section	.AMDGPU.csdata,"",@progbits
; Kernel info:
; codeLenInByte = 1636
; TotalNumSgprs: 20
; NumVgprs: 19
; ScratchSize: 0
; MemoryBound: 1
; FloatMode: 240
; IeeeMode: 1
; LDSByteSize: 6144 bytes/workgroup (compile time only)
; SGPRBlocks: 2
; VGPRBlocks: 4
; NumSGPRsForWavesPerEU: 20
; NumVGPRsForWavesPerEU: 19
; Occupancy: 10
; WaveLimiterHint : 1
; COMPUTE_PGM_RSRC2:SCRATCH_EN: 0
; COMPUTE_PGM_RSRC2:USER_SGPR: 6
; COMPUTE_PGM_RSRC2:TRAP_HANDLER: 0
; COMPUTE_PGM_RSRC2:TGID_X_EN: 1
; COMPUTE_PGM_RSRC2:TGID_Y_EN: 0
; COMPUTE_PGM_RSRC2:TGID_Z_EN: 0
; COMPUTE_PGM_RSRC2:TIDIG_COMP_CNT: 0
	.section	.text._ZN9rocsparseL19coomvn_atomic_loopsILj256ELj2El21rocsparse_complex_numIdES2_S2_S2_EEvlNS_24const_host_device_scalarIT5_EEPKT1_S8_PKT2_PKT3_PT4_21rocsparse_index_base_b,"axG",@progbits,_ZN9rocsparseL19coomvn_atomic_loopsILj256ELj2El21rocsparse_complex_numIdES2_S2_S2_EEvlNS_24const_host_device_scalarIT5_EEPKT1_S8_PKT2_PKT3_PT4_21rocsparse_index_base_b,comdat
	.globl	_ZN9rocsparseL19coomvn_atomic_loopsILj256ELj2El21rocsparse_complex_numIdES2_S2_S2_EEvlNS_24const_host_device_scalarIT5_EEPKT1_S8_PKT2_PKT3_PT4_21rocsparse_index_base_b ; -- Begin function _ZN9rocsparseL19coomvn_atomic_loopsILj256ELj2El21rocsparse_complex_numIdES2_S2_S2_EEvlNS_24const_host_device_scalarIT5_EEPKT1_S8_PKT2_PKT3_PT4_21rocsparse_index_base_b
	.p2align	8
	.type	_ZN9rocsparseL19coomvn_atomic_loopsILj256ELj2El21rocsparse_complex_numIdES2_S2_S2_EEvlNS_24const_host_device_scalarIT5_EEPKT1_S8_PKT2_PKT3_PT4_21rocsparse_index_base_b,@function
_ZN9rocsparseL19coomvn_atomic_loopsILj256ELj2El21rocsparse_complex_numIdES2_S2_S2_EEvlNS_24const_host_device_scalarIT5_EEPKT1_S8_PKT2_PKT3_PT4_21rocsparse_index_base_b: ; @_ZN9rocsparseL19coomvn_atomic_loopsILj256ELj2El21rocsparse_complex_numIdES2_S2_S2_EEvlNS_24const_host_device_scalarIT5_EEPKT1_S8_PKT2_PKT3_PT4_21rocsparse_index_base_b
; %bb.0:
	s_load_dwordx2 s[34:35], s[4:5], 0x40
	s_load_dwordx4 s[36:39], s[4:5], 0x0
	s_or_b32 s0, s4, 8
	s_waitcnt lgkmcnt(0)
	s_bitcmp1_b32 s35, 0
	s_cselect_b32 s1, s5, s39
	s_cselect_b32 s0, s0, s38
	v_mov_b32_e32 v1, s0
	v_mov_b32_e32 v2, s1
	flat_load_dwordx4 v[1:4], v[1:2]
	s_waitcnt vmcnt(0) lgkmcnt(0)
	v_cmp_neq_f64_e32 vcc, 0, v[1:2]
	v_cmp_neq_f64_e64 s[0:1], 0, v[3:4]
	s_or_b64 s[0:1], vcc, s[0:1]
	s_and_saveexec_b64 s[2:3], s[0:1]
	s_cbranch_execz .LBB41_105
; %bb.1:
	s_load_dwordx8 s[24:31], s[4:5], 0x18
	v_mov_b32_e32 v5, 0
	v_lshl_or_b32 v15, s6, 9, v0
	v_mov_b32_e32 v16, 0
	v_mov_b32_e32 v6, 0
	v_cmp_gt_i64_e32 vcc, s[36:37], v[15:16]
	v_mov_b32_e32 v9, -1
	v_lshlrev_b64 v[13:14], 3, v[15:16]
	v_mov_b32_e32 v8, v6
	v_mov_b32_e32 v10, -1
	v_mov_b32_e32 v7, v5
	s_and_saveexec_b64 s[0:1], vcc
	s_cbranch_execz .LBB41_3
; %bb.2:
	s_waitcnt lgkmcnt(0)
	v_mov_b32_e32 v6, s27
	v_add_co_u32_e32 v5, vcc, s26, v13
	v_addc_co_u32_e32 v6, vcc, v6, v14, vcc
	global_load_dwordx2 v[9:10], v[5:6], off glc slc
	v_lshlrev_b64 v[5:6], 4, v[15:16]
	v_mov_b32_e32 v7, s29
	v_add_co_u32_e32 v5, vcc, s28, v5
	v_addc_co_u32_e32 v6, vcc, v7, v6, vcc
	v_mov_b32_e32 v11, s31
	global_load_dwordx4 v[5:8], v[5:6], off glc slc
	v_mov_b32_e32 v17, s25
	s_waitcnt vmcnt(1)
	v_subrev_co_u32_e32 v9, vcc, s34, v9
	v_subbrev_co_u32_e32 v10, vcc, 0, v10, vcc
	v_lshlrev_b64 v[9:10], 4, v[9:10]
	v_add_co_u32_e32 v9, vcc, s30, v9
	v_addc_co_u32_e32 v10, vcc, v11, v10, vcc
	global_load_dwordx4 v[9:12], v[9:10], off
	v_add_co_u32_e32 v16, vcc, s24, v13
	v_addc_co_u32_e32 v17, vcc, v17, v14, vcc
	global_load_dwordx2 v[16:17], v[16:17], off glc slc
	s_waitcnt vmcnt(1)
	v_mul_f64 v[18:19], v[11:12], -v[7:8]
	v_mul_f64 v[11:12], v[5:6], v[11:12]
	v_fma_f64 v[5:6], v[5:6], v[9:10], v[18:19]
	v_fma_f64 v[7:8], v[7:8], v[9:10], v[11:12]
	s_waitcnt vmcnt(0)
	v_subrev_co_u32_e32 v9, vcc, s34, v16
	v_subbrev_co_u32_e32 v10, vcc, 0, v17, vcc
.LBB41_3:
	s_or_b64 exec, exec, s[0:1]
	v_lshlrev_b32_e32 v11, 3, v0
	v_or_b32_e32 v23, 0x1000, v11
	v_lshlrev_b32_e32 v24, 4, v0
	v_cmp_eq_u32_e64 s[18:19], 0, v0
	v_cmp_ne_u32_e64 s[0:1], 0, v0
	v_add_u32_e32 v25, -8, v23
	ds_write_b64 v11, v[9:10] offset:4096
	ds_write_b128 v24, v[5:8]
	s_waitcnt lgkmcnt(0)
	s_barrier
	s_and_saveexec_b64 s[2:3], s[0:1]
	s_cbranch_execz .LBB41_7
; %bb.4:
	ds_read_b64 v[11:12], v25
	s_waitcnt lgkmcnt(0)
	v_cmp_eq_u64_e32 vcc, v[9:10], v[11:12]
	s_and_saveexec_b64 s[6:7], vcc
	s_cbranch_execz .LBB41_6
; %bb.5:
	v_add_u32_e32 v11, -16, v24
	ds_read_b128 v[16:19], v11
	s_waitcnt lgkmcnt(0)
	v_add_f64 v[5:6], v[5:6], v[16:17]
	v_add_f64 v[7:8], v[7:8], v[18:19]
.LBB41_6:
	s_or_b64 exec, exec, s[6:7]
.LBB41_7:
	s_or_b64 exec, exec, s[2:3]
	v_cmp_lt_u32_e64 s[2:3], 1, v0
	v_add_u32_e32 v26, -16, v23
	s_barrier
	ds_write_b128 v24, v[5:8]
	s_waitcnt lgkmcnt(0)
	s_barrier
	s_and_saveexec_b64 s[6:7], s[2:3]
	s_cbranch_execz .LBB41_11
; %bb.8:
	ds_read_b64 v[11:12], v26
	s_waitcnt lgkmcnt(0)
	v_cmp_eq_u64_e32 vcc, v[9:10], v[11:12]
	s_and_saveexec_b64 s[8:9], vcc
	s_cbranch_execz .LBB41_10
; %bb.9:
	v_subrev_u32_e32 v11, 32, v24
	ds_read_b128 v[16:19], v11
	s_waitcnt lgkmcnt(0)
	v_add_f64 v[5:6], v[5:6], v[16:17]
	v_add_f64 v[7:8], v[7:8], v[18:19]
.LBB41_10:
	s_or_b64 exec, exec, s[8:9]
.LBB41_11:
	s_or_b64 exec, exec, s[6:7]
	v_cmp_lt_u32_e64 s[20:21], 3, v0
	v_subrev_u32_e32 v27, 32, v23
	s_barrier
	ds_write_b128 v24, v[5:8]
	s_waitcnt lgkmcnt(0)
	s_barrier
	s_and_saveexec_b64 s[6:7], s[20:21]
	s_cbranch_execz .LBB41_15
; %bb.12:
	ds_read_b64 v[11:12], v27
	s_waitcnt lgkmcnt(0)
	v_cmp_eq_u64_e32 vcc, v[9:10], v[11:12]
	s_and_saveexec_b64 s[8:9], vcc
	s_cbranch_execz .LBB41_14
; %bb.13:
	v_subrev_u32_e32 v11, 64, v24
	ds_read_b128 v[16:19], v11
	s_waitcnt lgkmcnt(0)
	v_add_f64 v[5:6], v[5:6], v[16:17]
	v_add_f64 v[7:8], v[7:8], v[18:19]
.LBB41_14:
	s_or_b64 exec, exec, s[8:9]
.LBB41_15:
	s_or_b64 exec, exec, s[6:7]
	v_cmp_lt_u32_e64 s[6:7], 7, v0
	v_subrev_u32_e32 v28, 64, v23
	s_barrier
	ds_write_b128 v24, v[5:8]
	s_waitcnt lgkmcnt(0)
	s_barrier
	s_and_saveexec_b64 s[8:9], s[6:7]
	s_cbranch_execz .LBB41_19
; %bb.16:
	ds_read_b64 v[11:12], v28
	s_waitcnt lgkmcnt(0)
	v_cmp_eq_u64_e32 vcc, v[9:10], v[11:12]
	s_and_saveexec_b64 s[10:11], vcc
	s_cbranch_execz .LBB41_18
; %bb.17:
	v_add_u32_e32 v11, 0xffffff80, v24
	ds_read_b128 v[16:19], v11
	s_waitcnt lgkmcnt(0)
	v_add_f64 v[5:6], v[5:6], v[16:17]
	v_add_f64 v[7:8], v[7:8], v[18:19]
.LBB41_18:
	s_or_b64 exec, exec, s[10:11]
.LBB41_19:
	s_or_b64 exec, exec, s[8:9]
	v_cmp_lt_u32_e64 s[8:9], 15, v0
	s_barrier
	ds_write_b128 v24, v[5:8]
	s_waitcnt lgkmcnt(0)
	s_barrier
	s_and_saveexec_b64 s[10:11], s[8:9]
	s_cbranch_execz .LBB41_23
; %bb.20:
	v_add_u32_e32 v11, 0xffffff80, v23
	ds_read_b64 v[11:12], v11
	s_waitcnt lgkmcnt(0)
	v_cmp_eq_u64_e32 vcc, v[9:10], v[11:12]
	s_and_saveexec_b64 s[12:13], vcc
	s_cbranch_execz .LBB41_22
; %bb.21:
	v_add_u32_e32 v11, 0xffffff00, v24
	ds_read_b128 v[16:19], v11
	s_waitcnt lgkmcnt(0)
	v_add_f64 v[5:6], v[5:6], v[16:17]
	v_add_f64 v[7:8], v[7:8], v[18:19]
.LBB41_22:
	s_or_b64 exec, exec, s[12:13]
.LBB41_23:
	s_or_b64 exec, exec, s[10:11]
	v_cmp_lt_u32_e64 s[10:11], 31, v0
	s_barrier
	ds_write_b128 v24, v[5:8]
	s_waitcnt lgkmcnt(0)
	s_barrier
	s_and_saveexec_b64 s[12:13], s[10:11]
	s_cbranch_execz .LBB41_27
; %bb.24:
	v_add_u32_e32 v11, 0xffffff00, v23
	ds_read_b64 v[11:12], v11
	s_waitcnt lgkmcnt(0)
	v_cmp_eq_u64_e32 vcc, v[9:10], v[11:12]
	s_and_saveexec_b64 s[14:15], vcc
	s_cbranch_execz .LBB41_26
; %bb.25:
	v_add_u32_e32 v11, 0xfffffe00, v24
	ds_read_b128 v[16:19], v11
	s_waitcnt lgkmcnt(0)
	v_add_f64 v[5:6], v[5:6], v[16:17]
	v_add_f64 v[7:8], v[7:8], v[18:19]
.LBB41_26:
	s_or_b64 exec, exec, s[14:15]
.LBB41_27:
	;; [unrolled: 24-line block ×3, first 2 shown]
	s_or_b64 exec, exec, s[14:15]
	s_load_dwordx2 s[22:23], s[4:5], 0x38
	s_movk_i32 s4, 0x7f
	v_cmp_lt_u32_e64 s[14:15], s4, v0
	s_waitcnt lgkmcnt(0)
	s_barrier
	ds_write_b128 v24, v[5:8]
	s_waitcnt lgkmcnt(0)
	s_barrier
	s_and_saveexec_b64 s[4:5], s[14:15]
	s_cbranch_execz .LBB41_35
; %bb.32:
	v_add_u32_e32 v11, 0xfffffc00, v23
	ds_read_b64 v[11:12], v11
	s_waitcnt lgkmcnt(0)
	v_cmp_eq_u64_e32 vcc, v[9:10], v[11:12]
	s_and_saveexec_b64 s[16:17], vcc
	s_cbranch_execz .LBB41_34
; %bb.33:
	v_add_u32_e32 v11, 0xfffff800, v24
	ds_read_b128 v[16:19], v11
	s_waitcnt lgkmcnt(0)
	v_add_f64 v[5:6], v[5:6], v[16:17]
	v_add_f64 v[7:8], v[7:8], v[18:19]
.LBB41_34:
	s_or_b64 exec, exec, s[16:17]
.LBB41_35:
	s_or_b64 exec, exec, s[4:5]
	s_movk_i32 s4, 0xff
	v_cmp_gt_u32_e64 s[16:17], s4, v0
	s_barrier
	ds_write_b128 v24, v[5:8]
	s_waitcnt lgkmcnt(0)
	s_barrier
	s_and_saveexec_b64 s[38:39], s[16:17]
	s_cbranch_execz .LBB41_41
; %bb.36:
	ds_read_b64 v[11:12], v23 offset:8
	v_cmp_lt_i64_e64 s[4:5], -1, v[9:10]
	s_waitcnt lgkmcnt(0)
	v_cmp_ne_u64_e32 vcc, v[9:10], v[11:12]
	s_and_b64 s[4:5], s[4:5], vcc
	s_and_b64 exec, exec, s[4:5]
	s_cbranch_execz .LBB41_41
; %bb.37:
	v_lshlrev_b64 v[9:10], 4, v[9:10]
	v_mov_b32_e32 v11, s23
	v_add_co_u32_e32 v16, vcc, s22, v9
	v_addc_co_u32_e32 v17, vcc, v11, v10, vcc
	global_load_dwordx2 v[11:12], v[16:17], off
	v_mul_f64 v[9:10], v[7:8], -v[3:4]
	s_mov_b64 s[4:5], 0
	v_fma_f64 v[18:19], v[1:2], v[5:6], v[9:10]
.LBB41_38:                              ; =>This Inner Loop Header: Depth=1
	s_waitcnt vmcnt(0)
	v_add_f64 v[9:10], v[11:12], v[18:19]
	global_atomic_cmpswap_x2 v[9:10], v[16:17], v[9:12], off glc
	s_waitcnt vmcnt(0)
	v_cmp_eq_u64_e32 vcc, v[9:10], v[11:12]
	v_mov_b32_e32 v12, v10
	s_or_b64 s[4:5], vcc, s[4:5]
	v_mov_b32_e32 v11, v9
	s_andn2_b64 exec, exec, s[4:5]
	s_cbranch_execnz .LBB41_38
; %bb.39:
	s_or_b64 exec, exec, s[4:5]
	global_load_dwordx2 v[9:10], v[16:17], off offset:8
	v_mul_f64 v[7:8], v[1:2], v[7:8]
	s_mov_b64 s[4:5], 0
	v_fma_f64 v[5:6], v[3:4], v[5:6], v[7:8]
.LBB41_40:                              ; =>This Inner Loop Header: Depth=1
	s_waitcnt vmcnt(0)
	v_add_f64 v[7:8], v[9:10], v[5:6]
	global_atomic_cmpswap_x2 v[7:8], v[16:17], v[7:10], off offset:8 glc
	s_waitcnt vmcnt(0)
	v_cmp_eq_u64_e32 vcc, v[7:8], v[9:10]
	v_mov_b32_e32 v10, v8
	s_or_b64 s[4:5], vcc, s[4:5]
	v_mov_b32_e32 v9, v7
	s_andn2_b64 exec, exec, s[4:5]
	s_cbranch_execnz .LBB41_40
.LBB41_41:
	s_or_b64 exec, exec, s[38:39]
	v_add_co_u32_e32 v9, vcc, 0x100, v15
	v_addc_co_u32_e64 v10, s[4:5], 0, 0, vcc
	v_cmp_gt_i64_e32 vcc, s[36:37], v[9:10]
	v_mov_b32_e32 v17, -1
	v_mov_b32_e32 v5, 0
	v_mov_b32_e32 v7, 0
	v_mov_b32_e32 v18, -1
	v_mov_b32_e32 v6, 0
	v_mov_b32_e32 v8, 0
	s_and_saveexec_b64 s[4:5], vcc
	s_cbranch_execz .LBB41_43
; %bb.42:
	v_mov_b32_e32 v6, s27
	v_add_co_u32_e32 v5, vcc, s26, v13
	v_addc_co_u32_e32 v6, vcc, v6, v14, vcc
	global_load_dwordx2 v[11:12], v[5:6], off offset:2048 glc slc
	v_lshlrev_b64 v[5:6], 4, v[9:10]
	v_mov_b32_e32 v7, s29
	v_add_co_u32_e32 v5, vcc, s28, v5
	v_addc_co_u32_e32 v6, vcc, v7, v6, vcc
	v_mov_b32_e32 v15, s31
	global_load_dwordx4 v[5:8], v[5:6], off glc slc
	s_waitcnt vmcnt(1)
	v_subrev_co_u32_e32 v9, vcc, s34, v11
	v_subbrev_co_u32_e32 v10, vcc, 0, v12, vcc
	v_lshlrev_b64 v[9:10], 4, v[9:10]
	v_add_co_u32_e32 v9, vcc, s30, v9
	v_addc_co_u32_e32 v10, vcc, v15, v10, vcc
	global_load_dwordx4 v[9:12], v[9:10], off
	v_mov_b32_e32 v15, s25
	v_add_co_u32_e32 v13, vcc, s24, v13
	v_addc_co_u32_e32 v14, vcc, v15, v14, vcc
	global_load_dwordx2 v[13:14], v[13:14], off offset:2048 glc slc
	s_waitcnt vmcnt(1)
	v_mul_f64 v[15:16], v[11:12], -v[7:8]
	v_mul_f64 v[11:12], v[5:6], v[11:12]
	s_waitcnt vmcnt(0)
	v_subrev_co_u32_e32 v17, vcc, s34, v13
	v_fma_f64 v[5:6], v[5:6], v[9:10], v[15:16]
	v_fma_f64 v[7:8], v[7:8], v[9:10], v[11:12]
	v_subbrev_co_u32_e32 v18, vcc, 0, v14, vcc
.LBB41_43:
	s_or_b64 exec, exec, s[4:5]
	s_and_saveexec_b64 s[4:5], s[18:19]
	s_cbranch_execz .LBB41_62
; %bb.44:
	v_mov_b32_e32 v9, 0
	ds_read_b64 v[13:14], v9 offset:6136
	s_waitcnt lgkmcnt(0)
	v_cmp_ne_u64_e32 vcc, v[17:18], v[13:14]
	s_and_saveexec_b64 s[18:19], vcc
	s_xor_b64 s[18:19], exec, s[18:19]
	s_cbranch_execz .LBB41_59
; %bb.45:
	v_cmp_gt_i64_e32 vcc, 0, v[13:14]
	s_cbranch_vccnz .LBB41_59
; %bb.46:
	v_mov_b32_e32 v9, 0
	ds_read_b128 v[9:12], v9 offset:4080
	v_mov_b32_e32 v21, 0
	s_mov_b64 s[24:25], exec
	v_bfrev_b32_e32 v22, 1
	s_waitcnt lgkmcnt(0)
	v_mul_f64 v[15:16], v[11:12], -v[3:4]
	v_fma_f64 v[15:16], v[1:2], v[9:10], v[15:16]
.LBB41_47:                              ; =>This Inner Loop Header: Depth=1
	s_ff1_i32_b64 s28, s[24:25]
	v_readlane_b32 s27, v16, s28
	v_readlane_b32 s26, v15, s28
	v_add_f64 v[21:22], v[21:22], s[26:27]
	s_lshl_b64 s[26:27], 1, s28
	s_andn2_b64 s[24:25], s[24:25], s[26:27]
	s_cmp_lg_u64 s[24:25], 0
	s_cbranch_scc1 .LBB41_47
; %bb.48:
	v_lshlrev_b64 v[13:14], 4, v[13:14]
	v_mov_b32_e32 v15, s23
	v_add_co_u32_e32 v19, vcc, s22, v13
	v_mbcnt_lo_u32_b32 v13, exec_lo, 0
	v_addc_co_u32_e32 v20, vcc, v15, v14, vcc
	v_mbcnt_hi_u32_b32 v13, exec_hi, v13
	v_cmp_eq_u32_e32 vcc, 0, v13
	s_and_saveexec_b64 s[24:25], vcc
	s_xor_b64 s[24:25], exec, s[24:25]
	s_cbranch_execz .LBB41_52
; %bb.49:
	global_load_dwordx2 v[15:16], v[19:20], off
	s_mov_b64 s[26:27], 0
.LBB41_50:                              ; =>This Inner Loop Header: Depth=1
	s_waitcnt vmcnt(0)
	v_add_f64 v[13:14], v[15:16], v[21:22]
	global_atomic_cmpswap_x2 v[13:14], v[19:20], v[13:16], off glc
	s_waitcnt vmcnt(0)
	v_cmp_eq_u64_e32 vcc, v[13:14], v[15:16]
	v_mov_b32_e32 v16, v14
	s_or_b64 s[26:27], vcc, s[26:27]
	v_mov_b32_e32 v15, v13
	s_andn2_b64 exec, exec, s[26:27]
	s_cbranch_execnz .LBB41_50
; %bb.51:
	s_or_b64 exec, exec, s[26:27]
.LBB41_52:
	s_or_b64 exec, exec, s[24:25]
	v_mul_f64 v[11:12], v[1:2], v[11:12]
	v_mov_b32_e32 v13, 0
	s_mov_b64 s[24:25], exec
	v_bfrev_b32_e32 v14, 1
	v_fma_f64 v[9:10], v[3:4], v[9:10], v[11:12]
.LBB41_53:                              ; =>This Inner Loop Header: Depth=1
	s_ff1_i32_b64 s28, s[24:25]
	v_readlane_b32 s27, v10, s28
	v_readlane_b32 s26, v9, s28
	v_add_f64 v[13:14], v[13:14], s[26:27]
	s_lshl_b64 s[26:27], 1, s28
	s_andn2_b64 s[24:25], s[24:25], s[26:27]
	s_cmp_lg_u64 s[24:25], 0
	s_cbranch_scc1 .LBB41_53
; %bb.54:
	v_mbcnt_lo_u32_b32 v9, exec_lo, 0
	v_mbcnt_hi_u32_b32 v9, exec_hi, v9
	v_cmp_eq_u32_e32 vcc, 0, v9
	s_and_saveexec_b64 s[24:25], vcc
	s_xor_b64 s[24:25], exec, s[24:25]
	s_cbranch_execz .LBB41_58
; %bb.55:
	global_load_dwordx2 v[11:12], v[19:20], off offset:8
	s_mov_b64 s[26:27], 0
.LBB41_56:                              ; =>This Inner Loop Header: Depth=1
	s_waitcnt vmcnt(0)
	v_add_f64 v[9:10], v[11:12], v[13:14]
	global_atomic_cmpswap_x2 v[9:10], v[19:20], v[9:12], off offset:8 glc
	s_waitcnt vmcnt(0)
	v_cmp_eq_u64_e32 vcc, v[9:10], v[11:12]
	v_mov_b32_e32 v12, v10
	s_or_b64 s[26:27], vcc, s[26:27]
	v_mov_b32_e32 v11, v9
	s_andn2_b64 exec, exec, s[26:27]
	s_cbranch_execnz .LBB41_56
; %bb.57:
	s_or_b64 exec, exec, s[26:27]
.LBB41_58:
	s_or_b64 exec, exec, s[24:25]
.LBB41_59:
	s_andn2_saveexec_b64 s[18:19], s[18:19]
	s_cbranch_execz .LBB41_61
; %bb.60:
	v_mov_b32_e32 v9, 0
	ds_read_b128 v[9:12], v9 offset:4080
	s_waitcnt lgkmcnt(0)
	v_add_f64 v[5:6], v[5:6], v[9:10]
	v_add_f64 v[7:8], v[7:8], v[11:12]
.LBB41_61:
	s_or_b64 exec, exec, s[18:19]
.LBB41_62:
	s_or_b64 exec, exec, s[4:5]
	s_barrier
	ds_write_b64 v23, v[17:18]
	ds_write_b128 v24, v[5:8]
	s_waitcnt lgkmcnt(0)
	s_barrier
	s_and_saveexec_b64 s[4:5], s[0:1]
	s_cbranch_execz .LBB41_66
; %bb.63:
	ds_read_b64 v[9:10], v25
	s_waitcnt lgkmcnt(0)
	v_cmp_eq_u64_e32 vcc, v[17:18], v[9:10]
	s_and_saveexec_b64 s[0:1], vcc
	s_cbranch_execz .LBB41_65
; %bb.64:
	v_add_u32_e32 v9, -16, v24
	ds_read_b128 v[9:12], v9
	s_waitcnt lgkmcnt(0)
	v_add_f64 v[5:6], v[5:6], v[9:10]
	v_add_f64 v[7:8], v[7:8], v[11:12]
.LBB41_65:
	s_or_b64 exec, exec, s[0:1]
.LBB41_66:
	s_or_b64 exec, exec, s[4:5]
	s_barrier
	ds_write_b128 v24, v[5:8]
	s_waitcnt lgkmcnt(0)
	s_barrier
	s_and_saveexec_b64 s[0:1], s[2:3]
	s_cbranch_execz .LBB41_70
; %bb.67:
	ds_read_b64 v[9:10], v26
	s_waitcnt lgkmcnt(0)
	v_cmp_eq_u64_e32 vcc, v[17:18], v[9:10]
	s_and_saveexec_b64 s[2:3], vcc
	s_cbranch_execz .LBB41_69
; %bb.68:
	v_subrev_u32_e32 v9, 32, v24
	ds_read_b128 v[9:12], v9
	s_waitcnt lgkmcnt(0)
	v_add_f64 v[5:6], v[5:6], v[9:10]
	v_add_f64 v[7:8], v[7:8], v[11:12]
.LBB41_69:
	s_or_b64 exec, exec, s[2:3]
.LBB41_70:
	s_or_b64 exec, exec, s[0:1]
	s_barrier
	ds_write_b128 v24, v[5:8]
	s_waitcnt lgkmcnt(0)
	s_barrier
	s_and_saveexec_b64 s[0:1], s[20:21]
	s_cbranch_execz .LBB41_74
; %bb.71:
	ds_read_b64 v[9:10], v27
	s_waitcnt lgkmcnt(0)
	v_cmp_eq_u64_e32 vcc, v[17:18], v[9:10]
	s_and_saveexec_b64 s[2:3], vcc
	s_cbranch_execz .LBB41_73
; %bb.72:
	v_subrev_u32_e32 v9, 64, v24
	ds_read_b128 v[9:12], v9
	s_waitcnt lgkmcnt(0)
	v_add_f64 v[5:6], v[5:6], v[9:10]
	v_add_f64 v[7:8], v[7:8], v[11:12]
.LBB41_73:
	s_or_b64 exec, exec, s[2:3]
.LBB41_74:
	s_or_b64 exec, exec, s[0:1]
	s_barrier
	ds_write_b128 v24, v[5:8]
	s_waitcnt lgkmcnt(0)
	s_barrier
	s_and_saveexec_b64 s[0:1], s[6:7]
	s_cbranch_execz .LBB41_78
; %bb.75:
	ds_read_b64 v[9:10], v28
	s_waitcnt lgkmcnt(0)
	v_cmp_eq_u64_e32 vcc, v[17:18], v[9:10]
	s_and_saveexec_b64 s[2:3], vcc
	s_cbranch_execz .LBB41_77
; %bb.76:
	v_add_u32_e32 v9, 0xffffff80, v24
	ds_read_b128 v[9:12], v9
	s_waitcnt lgkmcnt(0)
	v_add_f64 v[5:6], v[5:6], v[9:10]
	v_add_f64 v[7:8], v[7:8], v[11:12]
.LBB41_77:
	s_or_b64 exec, exec, s[2:3]
.LBB41_78:
	s_or_b64 exec, exec, s[0:1]
	s_barrier
	ds_write_b128 v24, v[5:8]
	s_waitcnt lgkmcnt(0)
	s_barrier
	s_and_saveexec_b64 s[0:1], s[8:9]
	s_cbranch_execz .LBB41_82
; %bb.79:
	v_add_u32_e32 v9, 0xffffff80, v23
	ds_read_b64 v[9:10], v9
	s_waitcnt lgkmcnt(0)
	v_cmp_eq_u64_e32 vcc, v[17:18], v[9:10]
	s_and_saveexec_b64 s[2:3], vcc
	s_cbranch_execz .LBB41_81
; %bb.80:
	v_add_u32_e32 v9, 0xffffff00, v24
	ds_read_b128 v[9:12], v9
	s_waitcnt lgkmcnt(0)
	v_add_f64 v[5:6], v[5:6], v[9:10]
	v_add_f64 v[7:8], v[7:8], v[11:12]
.LBB41_81:
	s_or_b64 exec, exec, s[2:3]
.LBB41_82:
	s_or_b64 exec, exec, s[0:1]
	s_barrier
	ds_write_b128 v24, v[5:8]
	s_waitcnt lgkmcnt(0)
	s_barrier
	s_and_saveexec_b64 s[0:1], s[10:11]
	s_cbranch_execz .LBB41_86
; %bb.83:
	v_add_u32_e32 v9, 0xffffff00, v23
	ds_read_b64 v[9:10], v9
	s_waitcnt lgkmcnt(0)
	v_cmp_eq_u64_e32 vcc, v[17:18], v[9:10]
	s_and_saveexec_b64 s[2:3], vcc
	s_cbranch_execz .LBB41_85
; %bb.84:
	v_add_u32_e32 v9, 0xfffffe00, v24
	ds_read_b128 v[9:12], v9
	s_waitcnt lgkmcnt(0)
	v_add_f64 v[5:6], v[5:6], v[9:10]
	v_add_f64 v[7:8], v[7:8], v[11:12]
.LBB41_85:
	s_or_b64 exec, exec, s[2:3]
.LBB41_86:
	;; [unrolled: 23-line block ×4, first 2 shown]
	s_or_b64 exec, exec, s[0:1]
	s_barrier
	ds_write_b128 v24, v[5:8]
	s_waitcnt lgkmcnt(0)
	s_barrier
	s_and_saveexec_b64 s[2:3], s[16:17]
	s_cbranch_execz .LBB41_100
; %bb.95:
	ds_read_b64 v[9:10], v23 offset:8
	v_cmp_lt_i64_e64 s[0:1], -1, v[17:18]
	s_waitcnt lgkmcnt(0)
	v_cmp_ne_u64_e32 vcc, v[17:18], v[9:10]
	s_and_b64 s[0:1], s[0:1], vcc
	s_and_b64 exec, exec, s[0:1]
	s_cbranch_execz .LBB41_100
; %bb.96:
	v_lshlrev_b64 v[9:10], 4, v[17:18]
	v_mov_b32_e32 v11, s23
	v_add_co_u32_e32 v13, vcc, s22, v9
	v_addc_co_u32_e32 v14, vcc, v11, v10, vcc
	global_load_dwordx2 v[11:12], v[13:14], off
	v_mul_f64 v[9:10], v[7:8], -v[3:4]
	s_mov_b64 s[0:1], 0
	v_fma_f64 v[15:16], v[1:2], v[5:6], v[9:10]
.LBB41_97:                              ; =>This Inner Loop Header: Depth=1
	s_waitcnt vmcnt(0)
	v_add_f64 v[9:10], v[11:12], v[15:16]
	global_atomic_cmpswap_x2 v[9:10], v[13:14], v[9:12], off glc
	s_waitcnt vmcnt(0)
	v_cmp_eq_u64_e32 vcc, v[9:10], v[11:12]
	v_mov_b32_e32 v12, v10
	s_or_b64 s[0:1], vcc, s[0:1]
	v_mov_b32_e32 v11, v9
	s_andn2_b64 exec, exec, s[0:1]
	s_cbranch_execnz .LBB41_97
; %bb.98:
	s_or_b64 exec, exec, s[0:1]
	global_load_dwordx2 v[11:12], v[13:14], off offset:8
	v_mul_f64 v[9:10], v[1:2], v[7:8]
	s_mov_b64 s[0:1], 0
	v_fma_f64 v[15:16], v[3:4], v[5:6], v[9:10]
.LBB41_99:                              ; =>This Inner Loop Header: Depth=1
	s_waitcnt vmcnt(0)
	v_add_f64 v[9:10], v[11:12], v[15:16]
	global_atomic_cmpswap_x2 v[9:10], v[13:14], v[9:12], off offset:8 glc
	s_waitcnt vmcnt(0)
	v_cmp_eq_u64_e32 vcc, v[9:10], v[11:12]
	v_mov_b32_e32 v12, v10
	s_or_b64 s[0:1], vcc, s[0:1]
	v_mov_b32_e32 v11, v9
	s_andn2_b64 exec, exec, s[0:1]
	s_cbranch_execnz .LBB41_99
.LBB41_100:
	s_or_b64 exec, exec, s[2:3]
	s_movk_i32 s0, 0xff
	v_cmp_lt_i64_e32 vcc, -1, v[17:18]
	v_cmp_eq_u32_e64 s[0:1], s0, v0
	s_and_b64 s[0:1], s[0:1], vcc
	s_and_b64 exec, exec, s[0:1]
	s_cbranch_execz .LBB41_105
; %bb.101:
	v_lshlrev_b64 v[9:10], 4, v[17:18]
	v_mov_b32_e32 v0, s23
	v_add_co_u32_e32 v13, vcc, s22, v9
	v_addc_co_u32_e32 v14, vcc, v0, v10, vcc
	global_load_dwordx2 v[11:12], v[13:14], off
	v_mul_f64 v[9:10], v[7:8], -v[3:4]
	s_mov_b64 s[0:1], 0
	v_fma_f64 v[15:16], v[1:2], v[5:6], v[9:10]
.LBB41_102:                             ; =>This Inner Loop Header: Depth=1
	s_waitcnt vmcnt(0)
	v_add_f64 v[9:10], v[11:12], v[15:16]
	global_atomic_cmpswap_x2 v[9:10], v[13:14], v[9:12], off glc
	s_waitcnt vmcnt(0)
	v_cmp_eq_u64_e32 vcc, v[9:10], v[11:12]
	v_mov_b32_e32 v12, v10
	s_or_b64 s[0:1], vcc, s[0:1]
	v_mov_b32_e32 v11, v9
	s_andn2_b64 exec, exec, s[0:1]
	s_cbranch_execnz .LBB41_102
; %bb.103:
	s_or_b64 exec, exec, s[0:1]
	global_load_dwordx2 v[9:10], v[13:14], off offset:8
	v_mul_f64 v[0:1], v[1:2], v[7:8]
	s_mov_b64 s[0:1], 0
	v_fma_f64 v[0:1], v[3:4], v[5:6], v[0:1]
.LBB41_104:                             ; =>This Inner Loop Header: Depth=1
	s_waitcnt vmcnt(0)
	v_add_f64 v[7:8], v[9:10], v[0:1]
	global_atomic_cmpswap_x2 v[2:3], v[13:14], v[7:10], off offset:8 glc
	s_waitcnt vmcnt(0)
	v_cmp_eq_u64_e32 vcc, v[2:3], v[9:10]
	v_mov_b32_e32 v10, v3
	s_or_b64 s[0:1], vcc, s[0:1]
	v_mov_b32_e32 v9, v2
	s_andn2_b64 exec, exec, s[0:1]
	s_cbranch_execnz .LBB41_104
.LBB41_105:
	s_endpgm
	.section	.rodata,"a",@progbits
	.p2align	6, 0x0
	.amdhsa_kernel _ZN9rocsparseL19coomvn_atomic_loopsILj256ELj2El21rocsparse_complex_numIdES2_S2_S2_EEvlNS_24const_host_device_scalarIT5_EEPKT1_S8_PKT2_PKT3_PT4_21rocsparse_index_base_b
		.amdhsa_group_segment_fixed_size 6144
		.amdhsa_private_segment_fixed_size 0
		.amdhsa_kernarg_size 72
		.amdhsa_user_sgpr_count 6
		.amdhsa_user_sgpr_private_segment_buffer 1
		.amdhsa_user_sgpr_dispatch_ptr 0
		.amdhsa_user_sgpr_queue_ptr 0
		.amdhsa_user_sgpr_kernarg_segment_ptr 1
		.amdhsa_user_sgpr_dispatch_id 0
		.amdhsa_user_sgpr_flat_scratch_init 0
		.amdhsa_user_sgpr_private_segment_size 0
		.amdhsa_uses_dynamic_stack 0
		.amdhsa_system_sgpr_private_segment_wavefront_offset 0
		.amdhsa_system_sgpr_workgroup_id_x 1
		.amdhsa_system_sgpr_workgroup_id_y 0
		.amdhsa_system_sgpr_workgroup_id_z 0
		.amdhsa_system_sgpr_workgroup_info 0
		.amdhsa_system_vgpr_workitem_id 0
		.amdhsa_next_free_vgpr 29
		.amdhsa_next_free_sgpr 40
		.amdhsa_reserve_vcc 1
		.amdhsa_reserve_flat_scratch 0
		.amdhsa_float_round_mode_32 0
		.amdhsa_float_round_mode_16_64 0
		.amdhsa_float_denorm_mode_32 3
		.amdhsa_float_denorm_mode_16_64 3
		.amdhsa_dx10_clamp 1
		.amdhsa_ieee_mode 1
		.amdhsa_fp16_overflow 0
		.amdhsa_exception_fp_ieee_invalid_op 0
		.amdhsa_exception_fp_denorm_src 0
		.amdhsa_exception_fp_ieee_div_zero 0
		.amdhsa_exception_fp_ieee_overflow 0
		.amdhsa_exception_fp_ieee_underflow 0
		.amdhsa_exception_fp_ieee_inexact 0
		.amdhsa_exception_int_div_zero 0
	.end_amdhsa_kernel
	.section	.text._ZN9rocsparseL19coomvn_atomic_loopsILj256ELj2El21rocsparse_complex_numIdES2_S2_S2_EEvlNS_24const_host_device_scalarIT5_EEPKT1_S8_PKT2_PKT3_PT4_21rocsparse_index_base_b,"axG",@progbits,_ZN9rocsparseL19coomvn_atomic_loopsILj256ELj2El21rocsparse_complex_numIdES2_S2_S2_EEvlNS_24const_host_device_scalarIT5_EEPKT1_S8_PKT2_PKT3_PT4_21rocsparse_index_base_b,comdat
.Lfunc_end41:
	.size	_ZN9rocsparseL19coomvn_atomic_loopsILj256ELj2El21rocsparse_complex_numIdES2_S2_S2_EEvlNS_24const_host_device_scalarIT5_EEPKT1_S8_PKT2_PKT3_PT4_21rocsparse_index_base_b, .Lfunc_end41-_ZN9rocsparseL19coomvn_atomic_loopsILj256ELj2El21rocsparse_complex_numIdES2_S2_S2_EEvlNS_24const_host_device_scalarIT5_EEPKT1_S8_PKT2_PKT3_PT4_21rocsparse_index_base_b
                                        ; -- End function
	.set _ZN9rocsparseL19coomvn_atomic_loopsILj256ELj2El21rocsparse_complex_numIdES2_S2_S2_EEvlNS_24const_host_device_scalarIT5_EEPKT1_S8_PKT2_PKT3_PT4_21rocsparse_index_base_b.num_vgpr, 29
	.set _ZN9rocsparseL19coomvn_atomic_loopsILj256ELj2El21rocsparse_complex_numIdES2_S2_S2_EEvlNS_24const_host_device_scalarIT5_EEPKT1_S8_PKT2_PKT3_PT4_21rocsparse_index_base_b.num_agpr, 0
	.set _ZN9rocsparseL19coomvn_atomic_loopsILj256ELj2El21rocsparse_complex_numIdES2_S2_S2_EEvlNS_24const_host_device_scalarIT5_EEPKT1_S8_PKT2_PKT3_PT4_21rocsparse_index_base_b.numbered_sgpr, 40
	.set _ZN9rocsparseL19coomvn_atomic_loopsILj256ELj2El21rocsparse_complex_numIdES2_S2_S2_EEvlNS_24const_host_device_scalarIT5_EEPKT1_S8_PKT2_PKT3_PT4_21rocsparse_index_base_b.num_named_barrier, 0
	.set _ZN9rocsparseL19coomvn_atomic_loopsILj256ELj2El21rocsparse_complex_numIdES2_S2_S2_EEvlNS_24const_host_device_scalarIT5_EEPKT1_S8_PKT2_PKT3_PT4_21rocsparse_index_base_b.private_seg_size, 0
	.set _ZN9rocsparseL19coomvn_atomic_loopsILj256ELj2El21rocsparse_complex_numIdES2_S2_S2_EEvlNS_24const_host_device_scalarIT5_EEPKT1_S8_PKT2_PKT3_PT4_21rocsparse_index_base_b.uses_vcc, 1
	.set _ZN9rocsparseL19coomvn_atomic_loopsILj256ELj2El21rocsparse_complex_numIdES2_S2_S2_EEvlNS_24const_host_device_scalarIT5_EEPKT1_S8_PKT2_PKT3_PT4_21rocsparse_index_base_b.uses_flat_scratch, 0
	.set _ZN9rocsparseL19coomvn_atomic_loopsILj256ELj2El21rocsparse_complex_numIdES2_S2_S2_EEvlNS_24const_host_device_scalarIT5_EEPKT1_S8_PKT2_PKT3_PT4_21rocsparse_index_base_b.has_dyn_sized_stack, 0
	.set _ZN9rocsparseL19coomvn_atomic_loopsILj256ELj2El21rocsparse_complex_numIdES2_S2_S2_EEvlNS_24const_host_device_scalarIT5_EEPKT1_S8_PKT2_PKT3_PT4_21rocsparse_index_base_b.has_recursion, 0
	.set _ZN9rocsparseL19coomvn_atomic_loopsILj256ELj2El21rocsparse_complex_numIdES2_S2_S2_EEvlNS_24const_host_device_scalarIT5_EEPKT1_S8_PKT2_PKT3_PT4_21rocsparse_index_base_b.has_indirect_call, 0
	.section	.AMDGPU.csdata,"",@progbits
; Kernel info:
; codeLenInByte = 3412
; TotalNumSgprs: 44
; NumVgprs: 29
; ScratchSize: 0
; MemoryBound: 1
; FloatMode: 240
; IeeeMode: 1
; LDSByteSize: 6144 bytes/workgroup (compile time only)
; SGPRBlocks: 5
; VGPRBlocks: 7
; NumSGPRsForWavesPerEU: 44
; NumVGPRsForWavesPerEU: 29
; Occupancy: 8
; WaveLimiterHint : 1
; COMPUTE_PGM_RSRC2:SCRATCH_EN: 0
; COMPUTE_PGM_RSRC2:USER_SGPR: 6
; COMPUTE_PGM_RSRC2:TRAP_HANDLER: 0
; COMPUTE_PGM_RSRC2:TGID_X_EN: 1
; COMPUTE_PGM_RSRC2:TGID_Y_EN: 0
; COMPUTE_PGM_RSRC2:TGID_Z_EN: 0
; COMPUTE_PGM_RSRC2:TIDIG_COMP_CNT: 0
	.section	.text._ZN9rocsparseL22coomvn_segmented_loopsILj256EiaaiiEEvlT0_NS_24const_host_device_scalarIT4_EEPKS1_S6_PKT1_PKT2_PT3_PS1_PS3_21rocsparse_index_base_b,"axG",@progbits,_ZN9rocsparseL22coomvn_segmented_loopsILj256EiaaiiEEvlT0_NS_24const_host_device_scalarIT4_EEPKS1_S6_PKT1_PKT2_PT3_PS1_PS3_21rocsparse_index_base_b,comdat
	.globl	_ZN9rocsparseL22coomvn_segmented_loopsILj256EiaaiiEEvlT0_NS_24const_host_device_scalarIT4_EEPKS1_S6_PKT1_PKT2_PT3_PS1_PS3_21rocsparse_index_base_b ; -- Begin function _ZN9rocsparseL22coomvn_segmented_loopsILj256EiaaiiEEvlT0_NS_24const_host_device_scalarIT4_EEPKS1_S6_PKT1_PKT2_PT3_PS1_PS3_21rocsparse_index_base_b
	.p2align	8
	.type	_ZN9rocsparseL22coomvn_segmented_loopsILj256EiaaiiEEvlT0_NS_24const_host_device_scalarIT4_EEPKS1_S6_PKT1_PKT2_PT3_PS1_PS3_21rocsparse_index_base_b,@function
_ZN9rocsparseL22coomvn_segmented_loopsILj256EiaaiiEEvlT0_NS_24const_host_device_scalarIT4_EEPKS1_S6_PKT1_PKT2_PT3_PS1_PS3_21rocsparse_index_base_b: ; @_ZN9rocsparseL22coomvn_segmented_loopsILj256EiaaiiEEvlT0_NS_24const_host_device_scalarIT4_EEPKS1_S6_PKT1_PKT2_PT3_PS1_PS3_21rocsparse_index_base_b
; %bb.0:
	s_load_dwordx2 s[28:29], s[4:5], 0x50
	s_load_dwordx2 s[0:1], s[4:5], 0x10
	s_waitcnt lgkmcnt(0)
	s_bitcmp0_b32 s29, 0
	s_cbranch_scc0 .LBB42_2
; %bb.1:
	s_load_dword s29, s[0:1], 0x0
	s_cbranch_execz .LBB42_3
	s_branch .LBB42_4
.LBB42_2:
                                        ; implicit-def: $sgpr29
.LBB42_3:
	s_waitcnt lgkmcnt(0)
	s_mov_b32 s29, s0
.LBB42_4:
	s_waitcnt lgkmcnt(0)
	s_cmp_eq_u32 s29, 0
	s_cbranch_scc1 .LBB42_91
; %bb.5:
	s_load_dword s44, s[4:5], 0x8
	s_load_dwordx2 s[30:31], s[4:5], 0x0
	s_load_dwordx8 s[36:43], s[4:5], 0x18
	v_mov_b32_e32 v2, 0
	v_mov_b32_e32 v3, -1
	s_waitcnt lgkmcnt(0)
	s_mul_i32 s0, s6, s44
	v_lshl_or_b32 v1, s0, 8, v0
	v_cmp_gt_i64_e32 vcc, s[30:31], v[1:2]
	v_lshlrev_b64 v[5:6], 2, v[1:2]
	s_and_saveexec_b64 s[0:1], vcc
	s_cbranch_execz .LBB42_7
; %bb.6:
	v_mov_b32_e32 v3, s39
	v_add_co_u32_e32 v2, vcc, s38, v5
	v_addc_co_u32_e32 v3, vcc, v3, v6, vcc
	global_load_dword v4, v[2:3], off glc slc
	v_mov_b32_e32 v3, s37
	v_add_co_u32_e32 v2, vcc, s36, v5
	v_addc_co_u32_e32 v3, vcc, v3, v6, vcc
	v_mov_b32_e32 v8, s41
	v_add_co_u32_e32 v7, vcc, s40, v1
	s_ashr_i32 s2, s28, 31
	v_addc_co_u32_e32 v8, vcc, 0, v8, vcc
	v_mov_b32_e32 v9, s43
	s_sub_u32 s3, 0, s28
	global_load_dword v10, v[2:3], off glc slc
	global_load_sbyte v11, v[7:8], off glc slc
	s_subb_u32 s2, 0, s2
	v_mov_b32_e32 v3, s2
	s_waitcnt vmcnt(2)
	v_ashrrev_i32_e32 v2, 31, v4
	v_add_co_u32_e32 v4, vcc, s42, v4
	v_addc_co_u32_e32 v7, vcc, v9, v2, vcc
	v_add_co_u32_e32 v2, vcc, s3, v4
	v_addc_co_u32_e32 v3, vcc, v7, v3, vcc
	global_load_sbyte v2, v[2:3], off
	s_waitcnt vmcnt(2)
	v_subrev_u32_e32 v3, s28, v10
	s_waitcnt vmcnt(0)
	v_mul_i32_i24_e32 v2, v2, v11
.LBB42_7:
	s_or_b64 exec, exec, s[0:1]
	v_lshlrev_b32_e32 v11, 2, v0
	v_or_b32_e32 v12, 0x400, v11
	v_cmp_eq_u32_e64 s[0:1], 0, v0
	v_cmp_ne_u32_e64 s[2:3], 0, v0
	v_add_u32_e32 v13, -4, v11
	ds_write2st64_b32 v11, v3, v2 offset1:4
	s_waitcnt lgkmcnt(0)
	s_barrier
	s_and_saveexec_b64 s[8:9], s[2:3]
	s_cbranch_execz .LBB42_11
; %bb.8:
	ds_read_b32 v4, v13
	s_waitcnt lgkmcnt(0)
	v_cmp_eq_u32_e32 vcc, v3, v4
	s_and_saveexec_b64 s[10:11], vcc
	s_cbranch_execz .LBB42_10
; %bb.9:
	v_add_u32_e32 v4, -4, v12
	ds_read_b32 v4, v4
	s_waitcnt lgkmcnt(0)
	v_add_u32_e32 v2, v4, v2
.LBB42_10:
	s_or_b64 exec, exec, s[10:11]
.LBB42_11:
	s_or_b64 exec, exec, s[8:9]
	v_cmp_lt_u32_e64 s[22:23], 1, v0
	v_add_u32_e32 v14, -8, v11
	s_barrier
	ds_write_b32 v12, v2
	s_waitcnt lgkmcnt(0)
	s_barrier
	s_and_saveexec_b64 s[8:9], s[22:23]
	s_cbranch_execz .LBB42_15
; %bb.12:
	ds_read_b32 v4, v14
	s_waitcnt lgkmcnt(0)
	v_cmp_eq_u32_e32 vcc, v3, v4
	s_and_saveexec_b64 s[10:11], vcc
	s_cbranch_execz .LBB42_14
; %bb.13:
	v_add_u32_e32 v4, -8, v12
	ds_read_b32 v4, v4
	s_waitcnt lgkmcnt(0)
	v_add_u32_e32 v2, v4, v2
.LBB42_14:
	s_or_b64 exec, exec, s[10:11]
.LBB42_15:
	s_or_b64 exec, exec, s[8:9]
	v_cmp_lt_u32_e64 s[8:9], 3, v0
	v_add_u32_e32 v15, -16, v11
	s_barrier
	ds_write_b32 v12, v2
	s_waitcnt lgkmcnt(0)
	s_barrier
	s_and_saveexec_b64 s[10:11], s[8:9]
	s_cbranch_execz .LBB42_19
; %bb.16:
	ds_read_b32 v4, v15
	s_waitcnt lgkmcnt(0)
	v_cmp_eq_u32_e32 vcc, v3, v4
	s_and_saveexec_b64 s[12:13], vcc
	s_cbranch_execz .LBB42_18
; %bb.17:
	v_add_u32_e32 v4, -16, v12
	ds_read_b32 v4, v4
	s_waitcnt lgkmcnt(0)
	v_add_u32_e32 v2, v4, v2
.LBB42_18:
	s_or_b64 exec, exec, s[12:13]
.LBB42_19:
	s_or_b64 exec, exec, s[10:11]
	v_cmp_lt_u32_e64 s[10:11], 7, v0
	v_subrev_u32_e32 v16, 32, v11
	s_barrier
	ds_write_b32 v12, v2
	s_waitcnt lgkmcnt(0)
	s_barrier
	s_and_saveexec_b64 s[12:13], s[10:11]
	s_cbranch_execz .LBB42_23
; %bb.20:
	ds_read_b32 v4, v16
	s_waitcnt lgkmcnt(0)
	v_cmp_eq_u32_e32 vcc, v3, v4
	s_and_saveexec_b64 s[14:15], vcc
	s_cbranch_execz .LBB42_22
; %bb.21:
	v_subrev_u32_e32 v4, 32, v12
	ds_read_b32 v4, v4
	s_waitcnt lgkmcnt(0)
	v_add_u32_e32 v2, v4, v2
.LBB42_22:
	s_or_b64 exec, exec, s[14:15]
.LBB42_23:
	s_or_b64 exec, exec, s[12:13]
	v_cmp_lt_u32_e64 s[12:13], 15, v0
	v_subrev_u32_e32 v17, 64, v11
	s_barrier
	ds_write_b32 v12, v2
	s_waitcnt lgkmcnt(0)
	s_barrier
	s_and_saveexec_b64 s[14:15], s[12:13]
	s_cbranch_execz .LBB42_27
; %bb.24:
	ds_read_b32 v4, v17
	s_waitcnt lgkmcnt(0)
	v_cmp_eq_u32_e32 vcc, v3, v4
	s_and_saveexec_b64 s[16:17], vcc
	s_cbranch_execz .LBB42_26
; %bb.25:
	v_subrev_u32_e32 v4, 64, v12
	ds_read_b32 v4, v4
	s_waitcnt lgkmcnt(0)
	v_add_u32_e32 v2, v4, v2
.LBB42_26:
	s_or_b64 exec, exec, s[16:17]
.LBB42_27:
	s_or_b64 exec, exec, s[14:15]
	v_cmp_lt_u32_e64 s[14:15], 31, v0
	s_barrier
	ds_write_b32 v12, v2
	s_waitcnt lgkmcnt(0)
	s_barrier
	s_and_saveexec_b64 s[16:17], s[14:15]
	s_cbranch_execz .LBB42_31
; %bb.28:
	v_add_u32_e32 v4, 0xffffff80, v11
	ds_read_b32 v4, v4
	s_waitcnt lgkmcnt(0)
	v_cmp_eq_u32_e32 vcc, v3, v4
	s_and_saveexec_b64 s[18:19], vcc
	s_cbranch_execz .LBB42_30
; %bb.29:
	v_add_u32_e32 v4, 0xffffff80, v12
	ds_read_b32 v4, v4
	s_waitcnt lgkmcnt(0)
	v_add_u32_e32 v2, v4, v2
.LBB42_30:
	s_or_b64 exec, exec, s[18:19]
.LBB42_31:
	s_or_b64 exec, exec, s[16:17]
	v_cmp_lt_u32_e64 s[16:17], 63, v0
	s_barrier
	ds_write_b32 v12, v2
	s_waitcnt lgkmcnt(0)
	s_barrier
	s_and_saveexec_b64 s[18:19], s[16:17]
	s_cbranch_execz .LBB42_35
; %bb.32:
	v_add_u32_e32 v4, 0xffffff00, v11
	ds_read_b32 v4, v4
	s_waitcnt lgkmcnt(0)
	v_cmp_eq_u32_e32 vcc, v3, v4
	s_and_saveexec_b64 s[20:21], vcc
	s_cbranch_execz .LBB42_34
; %bb.33:
	v_add_u32_e32 v4, 0xffffff00, v12
	ds_read_b32 v4, v4
	s_waitcnt lgkmcnt(0)
	v_add_u32_e32 v2, v4, v2
.LBB42_34:
	s_or_b64 exec, exec, s[20:21]
.LBB42_35:
	s_or_b64 exec, exec, s[18:19]
	s_load_dwordx2 s[34:35], s[4:5], 0x38
	s_movk_i32 s7, 0x7f
	v_cmp_lt_u32_e64 s[18:19], s7, v0
	s_waitcnt lgkmcnt(0)
	s_barrier
	ds_write_b32 v12, v2
	s_waitcnt lgkmcnt(0)
	s_barrier
	s_and_saveexec_b64 s[20:21], s[18:19]
	s_cbranch_execz .LBB42_39
; %bb.36:
	v_add_u32_e32 v4, 0xfffffe00, v11
	ds_read_b32 v4, v4
	s_waitcnt lgkmcnt(0)
	v_cmp_eq_u32_e32 vcc, v3, v4
	s_and_saveexec_b64 s[24:25], vcc
	s_cbranch_execz .LBB42_38
; %bb.37:
	v_add_u32_e32 v4, 0xfffffe00, v12
	ds_read_b32 v4, v4
	s_waitcnt lgkmcnt(0)
	v_add_u32_e32 v2, v4, v2
.LBB42_38:
	s_or_b64 exec, exec, s[24:25]
.LBB42_39:
	s_or_b64 exec, exec, s[20:21]
	s_movk_i32 s7, 0xff
	v_cmp_gt_u32_e64 s[20:21], s7, v0
	s_barrier
	ds_write_b32 v12, v2
	s_waitcnt lgkmcnt(0)
	s_barrier
	s_and_saveexec_b64 s[26:27], s[20:21]
	s_cbranch_execz .LBB42_42
; %bb.40:
	ds_read_b32 v4, v11 offset:4
	v_cmp_lt_i32_e64 s[24:25], -1, v3
	s_waitcnt lgkmcnt(0)
	v_cmp_ne_u32_e32 vcc, v3, v4
	s_and_b64 s[24:25], s[24:25], vcc
	s_and_b64 exec, exec, s[24:25]
	s_cbranch_execz .LBB42_42
; %bb.41:
	v_mov_b32_e32 v4, 0
	v_lshlrev_b64 v[7:8], 2, v[3:4]
	v_mov_b32_e32 v4, s35
	v_add_co_u32_e32 v7, vcc, s34, v7
	v_addc_co_u32_e32 v8, vcc, v4, v8, vcc
	global_load_dword v4, v[7:8], off
	s_waitcnt vmcnt(0)
	v_mad_u64_u32 v[9:10], s[24:25], v2, s29, v[4:5]
	global_store_dword v[7:8], v9, off
.LBB42_42:
	s_or_b64 exec, exec, s[26:27]
	s_load_dwordx4 s[24:27], s[4:5], 0x40
	s_cmp_lt_i32 s44, 2
	s_cbranch_scc1 .LBB42_89
; %bb.43:
	s_ashr_i32 s4, s28, 31
	s_sub_u32 s5, 0, s28
	s_subb_u32 s4, 0, s4
	s_add_u32 s7, s42, s5
	s_addc_u32 s33, s43, s4
	s_movk_i32 s4, 0x400
	v_add_co_u32_e32 v2, vcc, s4, v5
	v_addc_co_u32_e32 v3, vcc, 0, v6, vcc
	v_mov_b32_e32 v4, s39
	v_add_co_u32_e32 v5, vcc, s38, v2
	v_addc_co_u32_e32 v6, vcc, v4, v3, vcc
	v_mov_b32_e32 v4, s37
	v_add_co_u32_e32 v7, vcc, s36, v2
	v_addc_co_u32_e32 v8, vcc, v4, v3, vcc
	s_movk_i32 s4, 0x100
	v_add_co_u32_e32 v9, vcc, s4, v1
	v_add_u32_e32 v18, -8, v12
	v_add_u32_e32 v19, -16, v12
	v_subrev_u32_e32 v20, 32, v12
	v_subrev_u32_e32 v21, 64, v12
	v_add_u32_e32 v22, 0xffffff80, v11
	v_add_u32_e32 v23, 0xffffff80, v12
	;; [unrolled: 1-line block ×6, first 2 shown]
	v_addc_co_u32_e64 v10, s[4:5], 0, 0, vcc
	s_add_i32 s42, s44, -1
	s_mov_b32 s37, 0
	v_mov_b32_e32 v4, 0
	s_branch .LBB42_45
.LBB42_44:                              ;   in Loop: Header=BB42_45 Depth=1
	s_or_b64 exec, exec, s[38:39]
	v_add_co_u32_e32 v5, vcc, 0x400, v5
	v_addc_co_u32_e32 v6, vcc, 0, v6, vcc
	v_add_co_u32_e32 v9, vcc, 0x100, v9
	v_addc_co_u32_e32 v10, vcc, 0, v10, vcc
	v_add_co_u32_e32 v7, vcc, 0x400, v7
	s_add_i32 s42, s42, -1
	s_cmp_eq_u32 s42, 0
	v_addc_co_u32_e32 v8, vcc, 0, v8, vcc
	s_cbranch_scc1 .LBB42_89
.LBB42_45:                              ; =>This Inner Loop Header: Depth=1
	v_cmp_gt_i64_e32 vcc, s[30:31], v[9:10]
	v_mov_b32_e32 v3, -1
	v_mov_b32_e32 v2, 0
	s_and_saveexec_b64 s[4:5], vcc
	s_cbranch_execz .LBB42_47
; %bb.46:                               ;   in Loop: Header=BB42_45 Depth=1
	global_load_dword v3, v[5:6], off glc slc
	global_load_dword v28, v[7:8], off glc slc
	v_mov_b32_e32 v2, s41
	v_add_co_u32_e32 v1, vcc, s40, v9
	v_addc_co_u32_e32 v2, vcc, v2, v10, vcc
	v_mov_b32_e32 v29, s33
	global_load_sbyte v30, v[1:2], off glc slc
	s_waitcnt vmcnt(2)
	v_ashrrev_i32_e32 v2, 31, v3
	v_add_co_u32_e32 v1, vcc, s7, v3
	v_addc_co_u32_e32 v2, vcc, v29, v2, vcc
	global_load_sbyte v1, v[1:2], off
	s_waitcnt vmcnt(2)
	v_subrev_u32_e32 v3, s28, v28
	s_waitcnt vmcnt(0)
	v_mul_i32_i24_e32 v2, v1, v30
.LBB42_47:                              ;   in Loop: Header=BB42_45 Depth=1
	s_or_b64 exec, exec, s[4:5]
	s_and_saveexec_b64 s[4:5], s[0:1]
	s_cbranch_execz .LBB42_54
; %bb.48:                               ;   in Loop: Header=BB42_45 Depth=1
	ds_read_b32 v1, v4 offset:1020
	s_waitcnt lgkmcnt(0)
	v_readfirstlane_b32 s36, v1
	v_cmp_ne_u32_e32 vcc, v3, v1
	s_and_saveexec_b64 s[38:39], vcc
	s_xor_b64 s[38:39], exec, s[38:39]
	s_cbranch_execz .LBB42_51
; %bb.49:                               ;   in Loop: Header=BB42_45 Depth=1
	s_cmp_lt_i32 s36, 0
	s_cbranch_scc1 .LBB42_51
; %bb.50:                               ;   in Loop: Header=BB42_45 Depth=1
	s_lshl_b64 s[44:45], s[36:37], 2
	s_add_u32 s44, s34, s44
	s_addc_u32 s45, s35, s45
	global_load_dword v1, v4, s[44:45]
	ds_read_b32 v28, v4 offset:2044
	s_waitcnt lgkmcnt(0)
	v_mul_lo_u32 v28, v28, s29
	s_waitcnt vmcnt(0)
	v_add_u32_e32 v1, v28, v1
	global_store_dword v4, v1, s[44:45]
.LBB42_51:                              ;   in Loop: Header=BB42_45 Depth=1
	s_andn2_saveexec_b64 s[38:39], s[38:39]
	s_cbranch_execz .LBB42_53
; %bb.52:                               ;   in Loop: Header=BB42_45 Depth=1
	ds_read_b32 v1, v4 offset:2044
	s_waitcnt lgkmcnt(0)
	v_add_u32_e32 v2, v1, v2
.LBB42_53:                              ;   in Loop: Header=BB42_45 Depth=1
	s_or_b64 exec, exec, s[38:39]
.LBB42_54:                              ;   in Loop: Header=BB42_45 Depth=1
	s_or_b64 exec, exec, s[4:5]
	s_waitcnt vmcnt(0) lgkmcnt(0)
	s_barrier
	ds_write_b32 v11, v3
	ds_write_b32 v12, v2
	s_waitcnt lgkmcnt(0)
	s_barrier
	s_and_saveexec_b64 s[4:5], s[2:3]
	s_cbranch_execz .LBB42_58
; %bb.55:                               ;   in Loop: Header=BB42_45 Depth=1
	ds_read_b32 v1, v13
	s_waitcnt lgkmcnt(0)
	v_cmp_eq_u32_e32 vcc, v3, v1
	s_and_saveexec_b64 s[38:39], vcc
	s_cbranch_execz .LBB42_57
; %bb.56:                               ;   in Loop: Header=BB42_45 Depth=1
	v_add_u32_e32 v1, -4, v12
	ds_read_b32 v1, v1
	s_waitcnt lgkmcnt(0)
	v_add_u32_e32 v2, v1, v2
.LBB42_57:                              ;   in Loop: Header=BB42_45 Depth=1
	s_or_b64 exec, exec, s[38:39]
.LBB42_58:                              ;   in Loop: Header=BB42_45 Depth=1
	s_or_b64 exec, exec, s[4:5]
	s_barrier
	ds_write_b32 v12, v2
	s_waitcnt lgkmcnt(0)
	s_barrier
	s_and_saveexec_b64 s[4:5], s[22:23]
	s_cbranch_execz .LBB42_62
; %bb.59:                               ;   in Loop: Header=BB42_45 Depth=1
	ds_read_b32 v1, v14
	s_waitcnt lgkmcnt(0)
	v_cmp_eq_u32_e32 vcc, v3, v1
	s_and_saveexec_b64 s[38:39], vcc
	s_cbranch_execz .LBB42_61
; %bb.60:                               ;   in Loop: Header=BB42_45 Depth=1
	ds_read_b32 v1, v18
	s_waitcnt lgkmcnt(0)
	v_add_u32_e32 v2, v1, v2
.LBB42_61:                              ;   in Loop: Header=BB42_45 Depth=1
	s_or_b64 exec, exec, s[38:39]
.LBB42_62:                              ;   in Loop: Header=BB42_45 Depth=1
	s_or_b64 exec, exec, s[4:5]
	s_barrier
	ds_write_b32 v12, v2
	s_waitcnt lgkmcnt(0)
	s_barrier
	s_and_saveexec_b64 s[4:5], s[8:9]
	s_cbranch_execz .LBB42_66
; %bb.63:                               ;   in Loop: Header=BB42_45 Depth=1
	ds_read_b32 v1, v15
	s_waitcnt lgkmcnt(0)
	v_cmp_eq_u32_e32 vcc, v3, v1
	s_and_saveexec_b64 s[38:39], vcc
	s_cbranch_execz .LBB42_65
; %bb.64:                               ;   in Loop: Header=BB42_45 Depth=1
	ds_read_b32 v1, v19
	s_waitcnt lgkmcnt(0)
	v_add_u32_e32 v2, v1, v2
.LBB42_65:                              ;   in Loop: Header=BB42_45 Depth=1
	s_or_b64 exec, exec, s[38:39]
.LBB42_66:                              ;   in Loop: Header=BB42_45 Depth=1
	;; [unrolled: 20-line block ×7, first 2 shown]
	s_or_b64 exec, exec, s[4:5]
	s_barrier
	ds_write_b32 v12, v2
	s_waitcnt lgkmcnt(0)
	s_barrier
	s_and_saveexec_b64 s[38:39], s[20:21]
	s_cbranch_execz .LBB42_44
; %bb.87:                               ;   in Loop: Header=BB42_45 Depth=1
	ds_read_b32 v1, v11 offset:4
	v_cmp_lt_i32_e64 s[4:5], -1, v3
	s_waitcnt lgkmcnt(0)
	v_cmp_ne_u32_e32 vcc, v3, v1
	s_and_b64 s[4:5], s[4:5], vcc
	s_and_b64 exec, exec, s[4:5]
	s_cbranch_execz .LBB42_44
; %bb.88:                               ;   in Loop: Header=BB42_45 Depth=1
	v_lshlrev_b64 v[28:29], 2, v[3:4]
	v_mov_b32_e32 v1, s35
	v_add_co_u32_e32 v28, vcc, s34, v28
	v_addc_co_u32_e32 v29, vcc, v1, v29, vcc
	global_load_dword v1, v[28:29], off
	s_waitcnt vmcnt(0)
	v_mad_u64_u32 v[30:31], s[4:5], v2, s29, v[1:2]
	global_store_dword v[28:29], v30, off
	s_branch .LBB42_44
.LBB42_89:
	s_movk_i32 s0, 0xff
	v_cmp_eq_u32_e32 vcc, s0, v0
	s_and_saveexec_b64 s[0:1], vcc
	s_cbranch_execz .LBB42_91
; %bb.90:
	s_mov_b32 s7, 0
	s_lshl_b64 s[0:1], s[6:7], 2
	s_waitcnt lgkmcnt(0)
	s_add_u32 s2, s24, s0
	v_mul_lo_u32 v1, v2, s29
	s_addc_u32 s3, s25, s1
	v_mov_b32_e32 v0, 0
	s_add_u32 s0, s26, s0
	s_addc_u32 s1, s27, s1
	global_store_dword v0, v3, s[2:3] glc slc
	global_store_dword v0, v1, s[0:1] glc slc
.LBB42_91:
	s_endpgm
	.section	.rodata,"a",@progbits
	.p2align	6, 0x0
	.amdhsa_kernel _ZN9rocsparseL22coomvn_segmented_loopsILj256EiaaiiEEvlT0_NS_24const_host_device_scalarIT4_EEPKS1_S6_PKT1_PKT2_PT3_PS1_PS3_21rocsparse_index_base_b
		.amdhsa_group_segment_fixed_size 2048
		.amdhsa_private_segment_fixed_size 0
		.amdhsa_kernarg_size 88
		.amdhsa_user_sgpr_count 6
		.amdhsa_user_sgpr_private_segment_buffer 1
		.amdhsa_user_sgpr_dispatch_ptr 0
		.amdhsa_user_sgpr_queue_ptr 0
		.amdhsa_user_sgpr_kernarg_segment_ptr 1
		.amdhsa_user_sgpr_dispatch_id 0
		.amdhsa_user_sgpr_flat_scratch_init 0
		.amdhsa_user_sgpr_private_segment_size 0
		.amdhsa_uses_dynamic_stack 0
		.amdhsa_system_sgpr_private_segment_wavefront_offset 0
		.amdhsa_system_sgpr_workgroup_id_x 1
		.amdhsa_system_sgpr_workgroup_id_y 0
		.amdhsa_system_sgpr_workgroup_id_z 0
		.amdhsa_system_sgpr_workgroup_info 0
		.amdhsa_system_vgpr_workitem_id 0
		.amdhsa_next_free_vgpr 32
		.amdhsa_next_free_sgpr 46
		.amdhsa_reserve_vcc 1
		.amdhsa_reserve_flat_scratch 0
		.amdhsa_float_round_mode_32 0
		.amdhsa_float_round_mode_16_64 0
		.amdhsa_float_denorm_mode_32 3
		.amdhsa_float_denorm_mode_16_64 3
		.amdhsa_dx10_clamp 1
		.amdhsa_ieee_mode 1
		.amdhsa_fp16_overflow 0
		.amdhsa_exception_fp_ieee_invalid_op 0
		.amdhsa_exception_fp_denorm_src 0
		.amdhsa_exception_fp_ieee_div_zero 0
		.amdhsa_exception_fp_ieee_overflow 0
		.amdhsa_exception_fp_ieee_underflow 0
		.amdhsa_exception_fp_ieee_inexact 0
		.amdhsa_exception_int_div_zero 0
	.end_amdhsa_kernel
	.section	.text._ZN9rocsparseL22coomvn_segmented_loopsILj256EiaaiiEEvlT0_NS_24const_host_device_scalarIT4_EEPKS1_S6_PKT1_PKT2_PT3_PS1_PS3_21rocsparse_index_base_b,"axG",@progbits,_ZN9rocsparseL22coomvn_segmented_loopsILj256EiaaiiEEvlT0_NS_24const_host_device_scalarIT4_EEPKS1_S6_PKT1_PKT2_PT3_PS1_PS3_21rocsparse_index_base_b,comdat
.Lfunc_end42:
	.size	_ZN9rocsparseL22coomvn_segmented_loopsILj256EiaaiiEEvlT0_NS_24const_host_device_scalarIT4_EEPKS1_S6_PKT1_PKT2_PT3_PS1_PS3_21rocsparse_index_base_b, .Lfunc_end42-_ZN9rocsparseL22coomvn_segmented_loopsILj256EiaaiiEEvlT0_NS_24const_host_device_scalarIT4_EEPKS1_S6_PKT1_PKT2_PT3_PS1_PS3_21rocsparse_index_base_b
                                        ; -- End function
	.set _ZN9rocsparseL22coomvn_segmented_loopsILj256EiaaiiEEvlT0_NS_24const_host_device_scalarIT4_EEPKS1_S6_PKT1_PKT2_PT3_PS1_PS3_21rocsparse_index_base_b.num_vgpr, 32
	.set _ZN9rocsparseL22coomvn_segmented_loopsILj256EiaaiiEEvlT0_NS_24const_host_device_scalarIT4_EEPKS1_S6_PKT1_PKT2_PT3_PS1_PS3_21rocsparse_index_base_b.num_agpr, 0
	.set _ZN9rocsparseL22coomvn_segmented_loopsILj256EiaaiiEEvlT0_NS_24const_host_device_scalarIT4_EEPKS1_S6_PKT1_PKT2_PT3_PS1_PS3_21rocsparse_index_base_b.numbered_sgpr, 46
	.set _ZN9rocsparseL22coomvn_segmented_loopsILj256EiaaiiEEvlT0_NS_24const_host_device_scalarIT4_EEPKS1_S6_PKT1_PKT2_PT3_PS1_PS3_21rocsparse_index_base_b.num_named_barrier, 0
	.set _ZN9rocsparseL22coomvn_segmented_loopsILj256EiaaiiEEvlT0_NS_24const_host_device_scalarIT4_EEPKS1_S6_PKT1_PKT2_PT3_PS1_PS3_21rocsparse_index_base_b.private_seg_size, 0
	.set _ZN9rocsparseL22coomvn_segmented_loopsILj256EiaaiiEEvlT0_NS_24const_host_device_scalarIT4_EEPKS1_S6_PKT1_PKT2_PT3_PS1_PS3_21rocsparse_index_base_b.uses_vcc, 1
	.set _ZN9rocsparseL22coomvn_segmented_loopsILj256EiaaiiEEvlT0_NS_24const_host_device_scalarIT4_EEPKS1_S6_PKT1_PKT2_PT3_PS1_PS3_21rocsparse_index_base_b.uses_flat_scratch, 0
	.set _ZN9rocsparseL22coomvn_segmented_loopsILj256EiaaiiEEvlT0_NS_24const_host_device_scalarIT4_EEPKS1_S6_PKT1_PKT2_PT3_PS1_PS3_21rocsparse_index_base_b.has_dyn_sized_stack, 0
	.set _ZN9rocsparseL22coomvn_segmented_loopsILj256EiaaiiEEvlT0_NS_24const_host_device_scalarIT4_EEPKS1_S6_PKT1_PKT2_PT3_PS1_PS3_21rocsparse_index_base_b.has_recursion, 0
	.set _ZN9rocsparseL22coomvn_segmented_loopsILj256EiaaiiEEvlT0_NS_24const_host_device_scalarIT4_EEPKS1_S6_PKT1_PKT2_PT3_PS1_PS3_21rocsparse_index_base_b.has_indirect_call, 0
	.section	.AMDGPU.csdata,"",@progbits
; Kernel info:
; codeLenInByte = 2464
; TotalNumSgprs: 50
; NumVgprs: 32
; ScratchSize: 0
; MemoryBound: 0
; FloatMode: 240
; IeeeMode: 1
; LDSByteSize: 2048 bytes/workgroup (compile time only)
; SGPRBlocks: 6
; VGPRBlocks: 7
; NumSGPRsForWavesPerEU: 50
; NumVGPRsForWavesPerEU: 32
; Occupancy: 8
; WaveLimiterHint : 1
; COMPUTE_PGM_RSRC2:SCRATCH_EN: 0
; COMPUTE_PGM_RSRC2:USER_SGPR: 6
; COMPUTE_PGM_RSRC2:TRAP_HANDLER: 0
; COMPUTE_PGM_RSRC2:TGID_X_EN: 1
; COMPUTE_PGM_RSRC2:TGID_Y_EN: 0
; COMPUTE_PGM_RSRC2:TGID_Z_EN: 0
; COMPUTE_PGM_RSRC2:TIDIG_COMP_CNT: 0
	.section	.text._ZN9rocsparseL29coomvn_segmented_loops_reduceILj256EiiiEEvT0_NS_24const_host_device_scalarIT2_EEPKS1_PKS3_PT1_b,"axG",@progbits,_ZN9rocsparseL29coomvn_segmented_loops_reduceILj256EiiiEEvT0_NS_24const_host_device_scalarIT2_EEPKS1_PKS3_PT1_b,comdat
	.globl	_ZN9rocsparseL29coomvn_segmented_loops_reduceILj256EiiiEEvT0_NS_24const_host_device_scalarIT2_EEPKS1_PKS3_PT1_b ; -- Begin function _ZN9rocsparseL29coomvn_segmented_loops_reduceILj256EiiiEEvT0_NS_24const_host_device_scalarIT2_EEPKS1_PKS3_PT1_b
	.p2align	8
	.type	_ZN9rocsparseL29coomvn_segmented_loops_reduceILj256EiiiEEvT0_NS_24const_host_device_scalarIT2_EEPKS1_PKS3_PT1_b,@function
_ZN9rocsparseL29coomvn_segmented_loops_reduceILj256EiiiEEvT0_NS_24const_host_device_scalarIT2_EEPKS1_PKS3_PT1_b: ; @_ZN9rocsparseL29coomvn_segmented_loops_reduceILj256EiiiEEvT0_NS_24const_host_device_scalarIT2_EEPKS1_PKS3_PT1_b
; %bb.0:
	s_load_dword s2, s[4:5], 0x28
	s_load_dwordx2 s[0:1], s[4:5], 0x8
	s_waitcnt lgkmcnt(0)
	s_bitcmp0_b32 s2, 0
	s_cbranch_scc0 .LBB43_2
; %bb.1:
	s_load_dword s1, s[0:1], 0x0
	s_cbranch_execz .LBB43_3
	s_branch .LBB43_4
.LBB43_2:
                                        ; implicit-def: $sgpr1
.LBB43_3:
	s_waitcnt lgkmcnt(0)
	s_mov_b32 s1, s0
.LBB43_4:
	s_waitcnt lgkmcnt(0)
	s_cmp_eq_u32 s1, 0
	s_cbranch_scc1 .LBB43_46
; %bb.5:
	s_load_dword s28, s[4:5], 0x0
	s_waitcnt lgkmcnt(0)
	s_cmp_lt_i32 s28, 1
	s_cbranch_scc1 .LBB43_46
; %bb.6:
	v_subrev_co_u32_e32 v1, vcc, 1, v0
	v_mov_b32_e32 v2, 0x400
	s_load_dwordx4 s[8:11], s[4:5], 0x10
	s_load_dwordx2 s[6:7], s[4:5], 0x20
	s_xor_b64 s[4:5], vcc, -1
	v_lshl_add_u32 v7, v1, 2, v2
	v_subrev_co_u32_e32 v1, vcc, 2, v0
	s_xor_b64 s[12:13], vcc, -1
	v_lshl_add_u32 v8, v1, 2, v2
	v_subrev_co_u32_e32 v1, vcc, 4, v0
	s_xor_b64 s[14:15], vcc, -1
	v_lshl_add_u32 v10, v1, 2, v2
	v_subrev_co_u32_e32 v1, vcc, 8, v0
	s_xor_b64 s[16:17], vcc, -1
	v_lshl_add_u32 v12, v1, 2, v2
	v_subrev_co_u32_e32 v1, vcc, 16, v0
	s_xor_b64 s[18:19], vcc, -1
	v_lshl_add_u32 v14, v1, 2, v2
	v_subrev_co_u32_e32 v1, vcc, 32, v0
	s_xor_b64 s[20:21], vcc, -1
	v_lshl_add_u32 v16, v1, 2, v2
	v_subrev_co_u32_e32 v1, vcc, 64, v0
	s_movk_i32 s0, 0x80
	v_lshlrev_b32_e32 v5, 2, v0
	s_xor_b64 s[22:23], vcc, -1
	v_lshl_add_u32 v18, v1, 2, v2
	v_subrev_co_u32_e32 v1, vcc, s0, v0
	s_movk_i32 s0, 0xff
	v_or_b32_e32 v6, 0x400, v5
	v_add_u32_e32 v9, -16, v5
	v_subrev_u32_e32 v11, 32, v5
	v_subrev_u32_e32 v13, 64, v5
	v_add_u32_e32 v15, 0xffffff80, v5
	v_add_u32_e32 v17, 0xffffff00, v5
	s_xor_b64 s[24:25], vcc, -1
	v_add_u32_e32 v19, 0xfffffe00, v5
	v_lshl_add_u32 v20, v1, 2, v2
	v_cmp_gt_u32_e32 vcc, s0, v0
	s_mov_b32 s29, 0
	v_mov_b32_e32 v2, 0
	s_branch .LBB43_8
.LBB43_7:                               ;   in Loop: Header=BB43_8 Depth=1
	s_or_b64 exec, exec, s[2:3]
	s_addk_i32 s29, 0x100
	s_cmp_lt_i32 s29, s28
	s_waitcnt vmcnt(0)
	s_barrier
	s_cbranch_scc0 .LBB43_46
.LBB43_8:                               ; =>This Inner Loop Header: Depth=1
	v_add_u32_e32 v3, s29, v0
	v_cmp_gt_i32_e64 s[0:1], s28, v3
	v_mov_b32_e32 v1, -1
	v_mov_b32_e32 v4, 0
	s_and_saveexec_b64 s[2:3], s[0:1]
	s_cbranch_execz .LBB43_10
; %bb.9:                                ;   in Loop: Header=BB43_8 Depth=1
	v_ashrrev_i32_e32 v4, 31, v3
	v_lshlrev_b64 v[3:4], 2, v[3:4]
	s_waitcnt lgkmcnt(0)
	v_mov_b32_e32 v1, s11
	v_add_co_u32_e64 v21, s[0:1], s10, v3
	v_addc_co_u32_e64 v22, s[0:1], v1, v4, s[0:1]
	v_mov_b32_e32 v1, s9
	v_add_co_u32_e64 v23, s[0:1], s8, v3
	v_addc_co_u32_e64 v24, s[0:1], v1, v4, s[0:1]
	global_load_dword v1, v[23:24], off
	global_load_dword v4, v[21:22], off
.LBB43_10:                              ;   in Loop: Header=BB43_8 Depth=1
	s_or_b64 exec, exec, s[2:3]
	s_waitcnt vmcnt(1)
	ds_write_b32 v5, v1
	s_waitcnt vmcnt(0)
	ds_write_b32 v6, v4
	v_mov_b32_e32 v1, 0
	v_mov_b32_e32 v3, 0
	s_waitcnt lgkmcnt(0)
	s_barrier
	s_and_saveexec_b64 s[2:3], s[4:5]
	s_cbranch_execz .LBB43_14
; %bb.11:                               ;   in Loop: Header=BB43_8 Depth=1
	v_add_u32_e32 v3, -4, v5
	ds_read2_b32 v[3:4], v3 offset1:1
	s_waitcnt lgkmcnt(0)
	v_cmp_eq_u32_e64 s[0:1], v4, v3
	v_mov_b32_e32 v3, 0
	s_and_saveexec_b64 s[26:27], s[0:1]
; %bb.12:                               ;   in Loop: Header=BB43_8 Depth=1
	ds_read_b32 v3, v7
; %bb.13:                               ;   in Loop: Header=BB43_8 Depth=1
	s_or_b64 exec, exec, s[26:27]
.LBB43_14:                              ;   in Loop: Header=BB43_8 Depth=1
	s_or_b64 exec, exec, s[2:3]
	s_waitcnt lgkmcnt(0)
	s_barrier
	ds_read_b32 v4, v6
	s_waitcnt lgkmcnt(0)
	v_add_u32_e32 v3, v4, v3
	ds_write_b32 v6, v3
	s_waitcnt lgkmcnt(0)
	s_barrier
	s_and_saveexec_b64 s[2:3], s[12:13]
	s_cbranch_execz .LBB43_18
; %bb.15:                               ;   in Loop: Header=BB43_8 Depth=1
	v_add_u32_e32 v1, -8, v5
	ds_read_b32 v3, v5
	ds_read_b32 v1, v1
	s_waitcnt lgkmcnt(0)
	v_cmp_eq_u32_e64 s[0:1], v3, v1
	v_mov_b32_e32 v1, 0
	s_and_saveexec_b64 s[26:27], s[0:1]
; %bb.16:                               ;   in Loop: Header=BB43_8 Depth=1
	ds_read_b32 v1, v8
; %bb.17:                               ;   in Loop: Header=BB43_8 Depth=1
	s_or_b64 exec, exec, s[26:27]
.LBB43_18:                              ;   in Loop: Header=BB43_8 Depth=1
	s_or_b64 exec, exec, s[2:3]
	s_waitcnt lgkmcnt(0)
	s_barrier
	ds_read_b32 v3, v6
	s_waitcnt lgkmcnt(0)
	v_add_u32_e32 v1, v3, v1
	ds_write_b32 v6, v1
	v_mov_b32_e32 v1, 0
	v_mov_b32_e32 v3, 0
	s_waitcnt lgkmcnt(0)
	s_barrier
	s_and_saveexec_b64 s[2:3], s[14:15]
	s_cbranch_execz .LBB43_22
; %bb.19:                               ;   in Loop: Header=BB43_8 Depth=1
	ds_read_b32 v3, v5
	ds_read_b32 v4, v9
	s_waitcnt lgkmcnt(0)
	v_cmp_eq_u32_e64 s[0:1], v3, v4
	v_mov_b32_e32 v3, 0
	s_and_saveexec_b64 s[26:27], s[0:1]
; %bb.20:                               ;   in Loop: Header=BB43_8 Depth=1
	ds_read_b32 v3, v10
; %bb.21:                               ;   in Loop: Header=BB43_8 Depth=1
	s_or_b64 exec, exec, s[26:27]
.LBB43_22:                              ;   in Loop: Header=BB43_8 Depth=1
	s_or_b64 exec, exec, s[2:3]
	s_waitcnt lgkmcnt(0)
	s_barrier
	ds_read_b32 v4, v6
	s_waitcnt lgkmcnt(0)
	v_add_u32_e32 v3, v4, v3
	ds_write_b32 v6, v3
	s_waitcnt lgkmcnt(0)
	s_barrier
	s_and_saveexec_b64 s[2:3], s[16:17]
	s_cbranch_execz .LBB43_26
; %bb.23:                               ;   in Loop: Header=BB43_8 Depth=1
	ds_read_b32 v1, v5
	ds_read_b32 v3, v11
	s_waitcnt lgkmcnt(0)
	v_cmp_eq_u32_e64 s[0:1], v1, v3
	v_mov_b32_e32 v1, 0
	s_and_saveexec_b64 s[26:27], s[0:1]
; %bb.24:                               ;   in Loop: Header=BB43_8 Depth=1
	ds_read_b32 v1, v12
; %bb.25:                               ;   in Loop: Header=BB43_8 Depth=1
	s_or_b64 exec, exec, s[26:27]
.LBB43_26:                              ;   in Loop: Header=BB43_8 Depth=1
	s_or_b64 exec, exec, s[2:3]
	s_waitcnt lgkmcnt(0)
	s_barrier
	ds_read_b32 v3, v6
	s_waitcnt lgkmcnt(0)
	v_add_u32_e32 v1, v3, v1
	ds_write_b32 v6, v1
	v_mov_b32_e32 v1, 0
	v_mov_b32_e32 v3, 0
	s_waitcnt lgkmcnt(0)
	s_barrier
	s_and_saveexec_b64 s[2:3], s[18:19]
	s_cbranch_execz .LBB43_30
; %bb.27:                               ;   in Loop: Header=BB43_8 Depth=1
	ds_read_b32 v3, v5
	ds_read_b32 v4, v13
	s_waitcnt lgkmcnt(0)
	v_cmp_eq_u32_e64 s[0:1], v3, v4
	v_mov_b32_e32 v3, 0
	s_and_saveexec_b64 s[26:27], s[0:1]
; %bb.28:                               ;   in Loop: Header=BB43_8 Depth=1
	ds_read_b32 v3, v14
; %bb.29:                               ;   in Loop: Header=BB43_8 Depth=1
	s_or_b64 exec, exec, s[26:27]
.LBB43_30:                              ;   in Loop: Header=BB43_8 Depth=1
	s_or_b64 exec, exec, s[2:3]
	s_waitcnt lgkmcnt(0)
	s_barrier
	ds_read_b32 v4, v6
	s_waitcnt lgkmcnt(0)
	v_add_u32_e32 v3, v4, v3
	ds_write_b32 v6, v3
	s_waitcnt lgkmcnt(0)
	s_barrier
	s_and_saveexec_b64 s[2:3], s[20:21]
	s_cbranch_execz .LBB43_34
; %bb.31:                               ;   in Loop: Header=BB43_8 Depth=1
	ds_read_b32 v1, v5
	ds_read_b32 v3, v15
	s_waitcnt lgkmcnt(0)
	v_cmp_eq_u32_e64 s[0:1], v1, v3
	v_mov_b32_e32 v1, 0
	s_and_saveexec_b64 s[26:27], s[0:1]
; %bb.32:                               ;   in Loop: Header=BB43_8 Depth=1
	ds_read_b32 v1, v16
; %bb.33:                               ;   in Loop: Header=BB43_8 Depth=1
	s_or_b64 exec, exec, s[26:27]
.LBB43_34:                              ;   in Loop: Header=BB43_8 Depth=1
	;; [unrolled: 48-line block ×3, first 2 shown]
	s_or_b64 exec, exec, s[2:3]
	s_waitcnt lgkmcnt(0)
	s_barrier
	ds_read_b32 v3, v6
	s_waitcnt lgkmcnt(0)
	v_add_u32_e32 v1, v3, v1
	ds_write_b32 v6, v1
	s_waitcnt lgkmcnt(0)
	s_barrier
	ds_read_b32 v1, v5
	v_mov_b32_e32 v3, -1
	s_and_saveexec_b64 s[0:1], vcc
; %bb.43:                               ;   in Loop: Header=BB43_8 Depth=1
	ds_read_b32 v3, v5 offset:4
; %bb.44:                               ;   in Loop: Header=BB43_8 Depth=1
	s_or_b64 exec, exec, s[0:1]
	s_waitcnt lgkmcnt(0)
	v_cmp_ne_u32_e64 s[0:1], v1, v3
	v_cmp_lt_i32_e64 s[2:3], -1, v1
	s_and_b64 s[0:1], s[2:3], s[0:1]
	s_and_saveexec_b64 s[2:3], s[0:1]
	s_cbranch_execz .LBB43_7
; %bb.45:                               ;   in Loop: Header=BB43_8 Depth=1
	v_lshlrev_b64 v[3:4], 2, v[1:2]
	v_mov_b32_e32 v1, s7
	v_add_co_u32_e64 v3, s[0:1], s6, v3
	v_addc_co_u32_e64 v4, s[0:1], v1, v4, s[0:1]
	global_load_dword v1, v[3:4], off
	ds_read_b32 v21, v6
	s_waitcnt vmcnt(0) lgkmcnt(0)
	v_add_u32_e32 v1, v21, v1
	global_store_dword v[3:4], v1, off
	s_branch .LBB43_7
.LBB43_46:
	s_endpgm
	.section	.rodata,"a",@progbits
	.p2align	6, 0x0
	.amdhsa_kernel _ZN9rocsparseL29coomvn_segmented_loops_reduceILj256EiiiEEvT0_NS_24const_host_device_scalarIT2_EEPKS1_PKS3_PT1_b
		.amdhsa_group_segment_fixed_size 2048
		.amdhsa_private_segment_fixed_size 0
		.amdhsa_kernarg_size 44
		.amdhsa_user_sgpr_count 6
		.amdhsa_user_sgpr_private_segment_buffer 1
		.amdhsa_user_sgpr_dispatch_ptr 0
		.amdhsa_user_sgpr_queue_ptr 0
		.amdhsa_user_sgpr_kernarg_segment_ptr 1
		.amdhsa_user_sgpr_dispatch_id 0
		.amdhsa_user_sgpr_flat_scratch_init 0
		.amdhsa_user_sgpr_private_segment_size 0
		.amdhsa_uses_dynamic_stack 0
		.amdhsa_system_sgpr_private_segment_wavefront_offset 0
		.amdhsa_system_sgpr_workgroup_id_x 1
		.amdhsa_system_sgpr_workgroup_id_y 0
		.amdhsa_system_sgpr_workgroup_id_z 0
		.amdhsa_system_sgpr_workgroup_info 0
		.amdhsa_system_vgpr_workitem_id 0
		.amdhsa_next_free_vgpr 25
		.amdhsa_next_free_sgpr 30
		.amdhsa_reserve_vcc 1
		.amdhsa_reserve_flat_scratch 0
		.amdhsa_float_round_mode_32 0
		.amdhsa_float_round_mode_16_64 0
		.amdhsa_float_denorm_mode_32 3
		.amdhsa_float_denorm_mode_16_64 3
		.amdhsa_dx10_clamp 1
		.amdhsa_ieee_mode 1
		.amdhsa_fp16_overflow 0
		.amdhsa_exception_fp_ieee_invalid_op 0
		.amdhsa_exception_fp_denorm_src 0
		.amdhsa_exception_fp_ieee_div_zero 0
		.amdhsa_exception_fp_ieee_overflow 0
		.amdhsa_exception_fp_ieee_underflow 0
		.amdhsa_exception_fp_ieee_inexact 0
		.amdhsa_exception_int_div_zero 0
	.end_amdhsa_kernel
	.section	.text._ZN9rocsparseL29coomvn_segmented_loops_reduceILj256EiiiEEvT0_NS_24const_host_device_scalarIT2_EEPKS1_PKS3_PT1_b,"axG",@progbits,_ZN9rocsparseL29coomvn_segmented_loops_reduceILj256EiiiEEvT0_NS_24const_host_device_scalarIT2_EEPKS1_PKS3_PT1_b,comdat
.Lfunc_end43:
	.size	_ZN9rocsparseL29coomvn_segmented_loops_reduceILj256EiiiEEvT0_NS_24const_host_device_scalarIT2_EEPKS1_PKS3_PT1_b, .Lfunc_end43-_ZN9rocsparseL29coomvn_segmented_loops_reduceILj256EiiiEEvT0_NS_24const_host_device_scalarIT2_EEPKS1_PKS3_PT1_b
                                        ; -- End function
	.set _ZN9rocsparseL29coomvn_segmented_loops_reduceILj256EiiiEEvT0_NS_24const_host_device_scalarIT2_EEPKS1_PKS3_PT1_b.num_vgpr, 25
	.set _ZN9rocsparseL29coomvn_segmented_loops_reduceILj256EiiiEEvT0_NS_24const_host_device_scalarIT2_EEPKS1_PKS3_PT1_b.num_agpr, 0
	.set _ZN9rocsparseL29coomvn_segmented_loops_reduceILj256EiiiEEvT0_NS_24const_host_device_scalarIT2_EEPKS1_PKS3_PT1_b.numbered_sgpr, 30
	.set _ZN9rocsparseL29coomvn_segmented_loops_reduceILj256EiiiEEvT0_NS_24const_host_device_scalarIT2_EEPKS1_PKS3_PT1_b.num_named_barrier, 0
	.set _ZN9rocsparseL29coomvn_segmented_loops_reduceILj256EiiiEEvT0_NS_24const_host_device_scalarIT2_EEPKS1_PKS3_PT1_b.private_seg_size, 0
	.set _ZN9rocsparseL29coomvn_segmented_loops_reduceILj256EiiiEEvT0_NS_24const_host_device_scalarIT2_EEPKS1_PKS3_PT1_b.uses_vcc, 1
	.set _ZN9rocsparseL29coomvn_segmented_loops_reduceILj256EiiiEEvT0_NS_24const_host_device_scalarIT2_EEPKS1_PKS3_PT1_b.uses_flat_scratch, 0
	.set _ZN9rocsparseL29coomvn_segmented_loops_reduceILj256EiiiEEvT0_NS_24const_host_device_scalarIT2_EEPKS1_PKS3_PT1_b.has_dyn_sized_stack, 0
	.set _ZN9rocsparseL29coomvn_segmented_loops_reduceILj256EiiiEEvT0_NS_24const_host_device_scalarIT2_EEPKS1_PKS3_PT1_b.has_recursion, 0
	.set _ZN9rocsparseL29coomvn_segmented_loops_reduceILj256EiiiEEvT0_NS_24const_host_device_scalarIT2_EEPKS1_PKS3_PT1_b.has_indirect_call, 0
	.section	.AMDGPU.csdata,"",@progbits
; Kernel info:
; codeLenInByte = 1428
; TotalNumSgprs: 34
; NumVgprs: 25
; ScratchSize: 0
; MemoryBound: 0
; FloatMode: 240
; IeeeMode: 1
; LDSByteSize: 2048 bytes/workgroup (compile time only)
; SGPRBlocks: 4
; VGPRBlocks: 6
; NumSGPRsForWavesPerEU: 34
; NumVGPRsForWavesPerEU: 25
; Occupancy: 9
; WaveLimiterHint : 0
; COMPUTE_PGM_RSRC2:SCRATCH_EN: 0
; COMPUTE_PGM_RSRC2:USER_SGPR: 6
; COMPUTE_PGM_RSRC2:TRAP_HANDLER: 0
; COMPUTE_PGM_RSRC2:TGID_X_EN: 1
; COMPUTE_PGM_RSRC2:TGID_Y_EN: 0
; COMPUTE_PGM_RSRC2:TGID_Z_EN: 0
; COMPUTE_PGM_RSRC2:TIDIG_COMP_CNT: 0
	.section	.text._ZN9rocsparseL13coomvt_kernelILj1024EiaaiiEEv20rocsparse_operation_lNS_24const_host_device_scalarIT4_EEPKT0_S7_PKT1_PKT2_PT3_21rocsparse_index_base_b,"axG",@progbits,_ZN9rocsparseL13coomvt_kernelILj1024EiaaiiEEv20rocsparse_operation_lNS_24const_host_device_scalarIT4_EEPKT0_S7_PKT1_PKT2_PT3_21rocsparse_index_base_b,comdat
	.globl	_ZN9rocsparseL13coomvt_kernelILj1024EiaaiiEEv20rocsparse_operation_lNS_24const_host_device_scalarIT4_EEPKT0_S7_PKT1_PKT2_PT3_21rocsparse_index_base_b ; -- Begin function _ZN9rocsparseL13coomvt_kernelILj1024EiaaiiEEv20rocsparse_operation_lNS_24const_host_device_scalarIT4_EEPKT0_S7_PKT1_PKT2_PT3_21rocsparse_index_base_b
	.p2align	8
	.type	_ZN9rocsparseL13coomvt_kernelILj1024EiaaiiEEv20rocsparse_operation_lNS_24const_host_device_scalarIT4_EEPKT0_S7_PKT1_PKT2_PT3_21rocsparse_index_base_b,@function
_ZN9rocsparseL13coomvt_kernelILj1024EiaaiiEEv20rocsparse_operation_lNS_24const_host_device_scalarIT4_EEPKT0_S7_PKT1_PKT2_PT3_21rocsparse_index_base_b: ; @_ZN9rocsparseL13coomvt_kernelILj1024EiaaiiEEv20rocsparse_operation_lNS_24const_host_device_scalarIT4_EEPKT0_S7_PKT1_PKT2_PT3_21rocsparse_index_base_b
; %bb.0:
	s_load_dwordx2 s[16:17], s[4:5], 0x40
	s_load_dwordx4 s[0:3], s[4:5], 0x8
	s_waitcnt lgkmcnt(0)
	s_bitcmp0_b32 s17, 0
	s_cbranch_scc0 .LBB44_2
; %bb.1:
	s_load_dword s3, s[2:3], 0x0
	s_cbranch_execz .LBB44_3
	s_branch .LBB44_4
.LBB44_2:
                                        ; implicit-def: $sgpr3
.LBB44_3:
	s_waitcnt lgkmcnt(0)
	s_mov_b32 s3, s2
.LBB44_4:
	s_waitcnt lgkmcnt(0)
	s_cmp_eq_u32 s3, 0
	s_cbranch_scc1 .LBB44_7
; %bb.5:
	s_load_dword s2, s[4:5], 0x54
	v_mov_b32_e32 v1, 0
	s_waitcnt lgkmcnt(0)
	s_and_b32 s2, s2, 0xffff
	s_mul_i32 s6, s6, s2
	v_add_u32_e32 v0, s6, v0
	v_cmp_gt_i64_e32 vcc, s[0:1], v[0:1]
	s_and_saveexec_b64 s[0:1], vcc
	s_cbranch_execz .LBB44_7
; %bb.6:
	s_load_dwordx8 s[8:15], s[4:5], 0x18
	v_lshlrev_b64 v[1:2], 2, v[0:1]
	s_load_dwordx2 s[0:1], s[4:5], 0x38
	s_waitcnt lgkmcnt(0)
	v_mov_b32_e32 v4, s9
	v_add_co_u32_e32 v3, vcc, s8, v1
	v_addc_co_u32_e32 v4, vcc, v4, v2, vcc
	global_load_dword v5, v[3:4], off
	v_mov_b32_e32 v3, s11
	v_add_co_u32_e32 v1, vcc, s10, v1
	v_addc_co_u32_e32 v2, vcc, v3, v2, vcc
	v_mov_b32_e32 v4, s13
	v_add_co_u32_e32 v3, vcc, s12, v0
	v_addc_co_u32_e32 v4, vcc, 0, v4, vcc
	global_load_dword v7, v[1:2], off
	global_load_sbyte v8, v[3:4], off
	v_mov_b32_e32 v6, s15
	v_mov_b32_e32 v3, s1
	s_waitcnt vmcnt(2)
	v_subrev_u32_e32 v0, s16, v5
	v_ashrrev_i32_e32 v1, 31, v0
	v_add_co_u32_e32 v0, vcc, s14, v0
	v_addc_co_u32_e32 v1, vcc, v6, v1, vcc
	global_load_sbyte v2, v[0:1], off
	s_waitcnt vmcnt(2)
	v_subrev_u32_e32 v0, s16, v7
	s_waitcnt vmcnt(1)
	v_mul_lo_u32 v4, s3, v8
	v_ashrrev_i32_e32 v1, 31, v0
	v_lshlrev_b64 v[0:1], 2, v[0:1]
	v_add_co_u32_e32 v0, vcc, s0, v0
	v_addc_co_u32_e32 v1, vcc, v3, v1, vcc
	s_waitcnt vmcnt(0)
	v_mul_lo_u32 v2, v4, v2
	global_atomic_add v[0:1], v2, off
.LBB44_7:
	s_endpgm
	.section	.rodata,"a",@progbits
	.p2align	6, 0x0
	.amdhsa_kernel _ZN9rocsparseL13coomvt_kernelILj1024EiaaiiEEv20rocsparse_operation_lNS_24const_host_device_scalarIT4_EEPKT0_S7_PKT1_PKT2_PT3_21rocsparse_index_base_b
		.amdhsa_group_segment_fixed_size 0
		.amdhsa_private_segment_fixed_size 0
		.amdhsa_kernarg_size 328
		.amdhsa_user_sgpr_count 6
		.amdhsa_user_sgpr_private_segment_buffer 1
		.amdhsa_user_sgpr_dispatch_ptr 0
		.amdhsa_user_sgpr_queue_ptr 0
		.amdhsa_user_sgpr_kernarg_segment_ptr 1
		.amdhsa_user_sgpr_dispatch_id 0
		.amdhsa_user_sgpr_flat_scratch_init 0
		.amdhsa_user_sgpr_private_segment_size 0
		.amdhsa_uses_dynamic_stack 0
		.amdhsa_system_sgpr_private_segment_wavefront_offset 0
		.amdhsa_system_sgpr_workgroup_id_x 1
		.amdhsa_system_sgpr_workgroup_id_y 0
		.amdhsa_system_sgpr_workgroup_id_z 0
		.amdhsa_system_sgpr_workgroup_info 0
		.amdhsa_system_vgpr_workitem_id 0
		.amdhsa_next_free_vgpr 9
		.amdhsa_next_free_sgpr 18
		.amdhsa_reserve_vcc 1
		.amdhsa_reserve_flat_scratch 0
		.amdhsa_float_round_mode_32 0
		.amdhsa_float_round_mode_16_64 0
		.amdhsa_float_denorm_mode_32 3
		.amdhsa_float_denorm_mode_16_64 3
		.amdhsa_dx10_clamp 1
		.amdhsa_ieee_mode 1
		.amdhsa_fp16_overflow 0
		.amdhsa_exception_fp_ieee_invalid_op 0
		.amdhsa_exception_fp_denorm_src 0
		.amdhsa_exception_fp_ieee_div_zero 0
		.amdhsa_exception_fp_ieee_overflow 0
		.amdhsa_exception_fp_ieee_underflow 0
		.amdhsa_exception_fp_ieee_inexact 0
		.amdhsa_exception_int_div_zero 0
	.end_amdhsa_kernel
	.section	.text._ZN9rocsparseL13coomvt_kernelILj1024EiaaiiEEv20rocsparse_operation_lNS_24const_host_device_scalarIT4_EEPKT0_S7_PKT1_PKT2_PT3_21rocsparse_index_base_b,"axG",@progbits,_ZN9rocsparseL13coomvt_kernelILj1024EiaaiiEEv20rocsparse_operation_lNS_24const_host_device_scalarIT4_EEPKT0_S7_PKT1_PKT2_PT3_21rocsparse_index_base_b,comdat
.Lfunc_end44:
	.size	_ZN9rocsparseL13coomvt_kernelILj1024EiaaiiEEv20rocsparse_operation_lNS_24const_host_device_scalarIT4_EEPKT0_S7_PKT1_PKT2_PT3_21rocsparse_index_base_b, .Lfunc_end44-_ZN9rocsparseL13coomvt_kernelILj1024EiaaiiEEv20rocsparse_operation_lNS_24const_host_device_scalarIT4_EEPKT0_S7_PKT1_PKT2_PT3_21rocsparse_index_base_b
                                        ; -- End function
	.set _ZN9rocsparseL13coomvt_kernelILj1024EiaaiiEEv20rocsparse_operation_lNS_24const_host_device_scalarIT4_EEPKT0_S7_PKT1_PKT2_PT3_21rocsparse_index_base_b.num_vgpr, 9
	.set _ZN9rocsparseL13coomvt_kernelILj1024EiaaiiEEv20rocsparse_operation_lNS_24const_host_device_scalarIT4_EEPKT0_S7_PKT1_PKT2_PT3_21rocsparse_index_base_b.num_agpr, 0
	.set _ZN9rocsparseL13coomvt_kernelILj1024EiaaiiEEv20rocsparse_operation_lNS_24const_host_device_scalarIT4_EEPKT0_S7_PKT1_PKT2_PT3_21rocsparse_index_base_b.numbered_sgpr, 18
	.set _ZN9rocsparseL13coomvt_kernelILj1024EiaaiiEEv20rocsparse_operation_lNS_24const_host_device_scalarIT4_EEPKT0_S7_PKT1_PKT2_PT3_21rocsparse_index_base_b.num_named_barrier, 0
	.set _ZN9rocsparseL13coomvt_kernelILj1024EiaaiiEEv20rocsparse_operation_lNS_24const_host_device_scalarIT4_EEPKT0_S7_PKT1_PKT2_PT3_21rocsparse_index_base_b.private_seg_size, 0
	.set _ZN9rocsparseL13coomvt_kernelILj1024EiaaiiEEv20rocsparse_operation_lNS_24const_host_device_scalarIT4_EEPKT0_S7_PKT1_PKT2_PT3_21rocsparse_index_base_b.uses_vcc, 1
	.set _ZN9rocsparseL13coomvt_kernelILj1024EiaaiiEEv20rocsparse_operation_lNS_24const_host_device_scalarIT4_EEPKT0_S7_PKT1_PKT2_PT3_21rocsparse_index_base_b.uses_flat_scratch, 0
	.set _ZN9rocsparseL13coomvt_kernelILj1024EiaaiiEEv20rocsparse_operation_lNS_24const_host_device_scalarIT4_EEPKT0_S7_PKT1_PKT2_PT3_21rocsparse_index_base_b.has_dyn_sized_stack, 0
	.set _ZN9rocsparseL13coomvt_kernelILj1024EiaaiiEEv20rocsparse_operation_lNS_24const_host_device_scalarIT4_EEPKT0_S7_PKT1_PKT2_PT3_21rocsparse_index_base_b.has_recursion, 0
	.set _ZN9rocsparseL13coomvt_kernelILj1024EiaaiiEEv20rocsparse_operation_lNS_24const_host_device_scalarIT4_EEPKT0_S7_PKT1_PKT2_PT3_21rocsparse_index_base_b.has_indirect_call, 0
	.section	.AMDGPU.csdata,"",@progbits
; Kernel info:
; codeLenInByte = 296
; TotalNumSgprs: 22
; NumVgprs: 9
; ScratchSize: 0
; MemoryBound: 0
; FloatMode: 240
; IeeeMode: 1
; LDSByteSize: 0 bytes/workgroup (compile time only)
; SGPRBlocks: 2
; VGPRBlocks: 2
; NumSGPRsForWavesPerEU: 22
; NumVGPRsForWavesPerEU: 9
; Occupancy: 10
; WaveLimiterHint : 1
; COMPUTE_PGM_RSRC2:SCRATCH_EN: 0
; COMPUTE_PGM_RSRC2:USER_SGPR: 6
; COMPUTE_PGM_RSRC2:TRAP_HANDLER: 0
; COMPUTE_PGM_RSRC2:TGID_X_EN: 1
; COMPUTE_PGM_RSRC2:TGID_Y_EN: 0
; COMPUTE_PGM_RSRC2:TGID_Z_EN: 0
; COMPUTE_PGM_RSRC2:TIDIG_COMP_CNT: 0
	.section	.text._ZN9rocsparseL19coomvn_atomic_loopsILj256ELj1EiaaiiEEvlNS_24const_host_device_scalarIT5_EEPKT1_S6_PKT2_PKT3_PT4_21rocsparse_index_base_b,"axG",@progbits,_ZN9rocsparseL19coomvn_atomic_loopsILj256ELj1EiaaiiEEvlNS_24const_host_device_scalarIT5_EEPKT1_S6_PKT2_PKT3_PT4_21rocsparse_index_base_b,comdat
	.globl	_ZN9rocsparseL19coomvn_atomic_loopsILj256ELj1EiaaiiEEvlNS_24const_host_device_scalarIT5_EEPKT1_S6_PKT2_PKT3_PT4_21rocsparse_index_base_b ; -- Begin function _ZN9rocsparseL19coomvn_atomic_loopsILj256ELj1EiaaiiEEvlNS_24const_host_device_scalarIT5_EEPKT1_S6_PKT2_PKT3_PT4_21rocsparse_index_base_b
	.p2align	8
	.type	_ZN9rocsparseL19coomvn_atomic_loopsILj256ELj1EiaaiiEEvlNS_24const_host_device_scalarIT5_EEPKT1_S6_PKT2_PKT3_PT4_21rocsparse_index_base_b,@function
_ZN9rocsparseL19coomvn_atomic_loopsILj256ELj1EiaaiiEEvlNS_24const_host_device_scalarIT5_EEPKT1_S6_PKT2_PKT3_PT4_21rocsparse_index_base_b: ; @_ZN9rocsparseL19coomvn_atomic_loopsILj256ELj1EiaaiiEEvlNS_24const_host_device_scalarIT5_EEPKT1_S6_PKT2_PKT3_PT4_21rocsparse_index_base_b
; %bb.0:
	s_load_dwordx2 s[16:17], s[4:5], 0x38
	s_load_dwordx4 s[0:3], s[4:5], 0x0
	s_waitcnt lgkmcnt(0)
	s_bitcmp0_b32 s17, 0
	s_cbranch_scc0 .LBB45_2
; %bb.1:
	s_load_dword s7, s[2:3], 0x0
	s_cbranch_execz .LBB45_3
	s_branch .LBB45_4
.LBB45_2:
                                        ; implicit-def: $sgpr7
.LBB45_3:
	s_waitcnt lgkmcnt(0)
	s_mov_b32 s7, s2
.LBB45_4:
	s_waitcnt lgkmcnt(0)
	s_cmp_eq_u32 s7, 0
	s_cbranch_scc1 .LBB45_44
; %bb.5:
	v_lshl_or_b32 v1, s6, 8, v0
	v_mov_b32_e32 v2, 0
	v_cmp_gt_i64_e32 vcc, s[0:1], v[1:2]
	v_mov_b32_e32 v3, -1
	s_and_saveexec_b64 s[0:1], vcc
	s_cbranch_execz .LBB45_7
; %bb.6:
	s_load_dwordx8 s[8:15], s[4:5], 0x10
	v_lshlrev_b64 v[2:3], 2, v[1:2]
	s_waitcnt lgkmcnt(0)
	v_mov_b32_e32 v5, s11
	v_add_co_u32_e32 v4, vcc, s10, v2
	v_addc_co_u32_e32 v5, vcc, v5, v3, vcc
	global_load_dword v6, v[4:5], off glc slc
	v_mov_b32_e32 v4, s9
	v_add_co_u32_e32 v2, vcc, s8, v2
	v_addc_co_u32_e32 v3, vcc, v4, v3, vcc
	v_mov_b32_e32 v5, s13
	v_add_co_u32_e32 v4, vcc, s12, v1
	v_addc_co_u32_e32 v5, vcc, 0, v5, vcc
	v_mov_b32_e32 v7, s15
	global_load_dword v8, v[2:3], off glc slc
	global_load_sbyte v9, v[4:5], off glc slc
	s_waitcnt vmcnt(2)
	v_subrev_u32_e32 v1, s16, v6
	v_ashrrev_i32_e32 v2, 31, v1
	v_add_co_u32_e32 v1, vcc, s14, v1
	v_addc_co_u32_e32 v2, vcc, v7, v2, vcc
	global_load_sbyte v1, v[1:2], off
	s_waitcnt vmcnt(2)
	v_subrev_u32_e32 v3, s16, v8
	s_waitcnt vmcnt(0)
	v_mul_i32_i24_e32 v2, v1, v9
.LBB45_7:
	s_or_b64 exec, exec, s[0:1]
	v_lshlrev_b32_e32 v1, 2, v0
	v_or_b32_e32 v4, 0x400, v1
	v_cmp_ne_u32_e32 vcc, 0, v0
	ds_write2st64_b32 v1, v3, v2 offset1:4
	s_waitcnt lgkmcnt(0)
	s_barrier
	s_and_saveexec_b64 s[0:1], vcc
	s_cbranch_execz .LBB45_11
; %bb.8:
	v_add_u32_e32 v5, -4, v1
	ds_read_b32 v5, v5
	s_waitcnt lgkmcnt(0)
	v_cmp_eq_u32_e32 vcc, v3, v5
	s_and_saveexec_b64 s[2:3], vcc
	s_cbranch_execz .LBB45_10
; %bb.9:
	v_add_u32_e32 v5, -4, v4
	ds_read_b32 v5, v5
	s_waitcnt lgkmcnt(0)
	v_add_u32_e32 v2, v5, v2
.LBB45_10:
	s_or_b64 exec, exec, s[2:3]
.LBB45_11:
	s_or_b64 exec, exec, s[0:1]
	v_cmp_lt_u32_e32 vcc, 1, v0
	s_barrier
	ds_write_b32 v4, v2
	s_waitcnt lgkmcnt(0)
	s_barrier
	s_and_saveexec_b64 s[0:1], vcc
	s_cbranch_execz .LBB45_15
; %bb.12:
	v_add_u32_e32 v5, -8, v1
	ds_read_b32 v5, v5
	s_waitcnt lgkmcnt(0)
	v_cmp_eq_u32_e32 vcc, v3, v5
	s_and_saveexec_b64 s[2:3], vcc
	s_cbranch_execz .LBB45_14
; %bb.13:
	v_add_u32_e32 v5, -8, v4
	ds_read_b32 v5, v5
	s_waitcnt lgkmcnt(0)
	v_add_u32_e32 v2, v5, v2
.LBB45_14:
	s_or_b64 exec, exec, s[2:3]
.LBB45_15:
	s_or_b64 exec, exec, s[0:1]
	v_cmp_lt_u32_e32 vcc, 3, v0
	s_barrier
	ds_write_b32 v4, v2
	;; [unrolled: 23-line block ×3, first 2 shown]
	s_waitcnt lgkmcnt(0)
	s_barrier
	s_and_saveexec_b64 s[0:1], vcc
	s_cbranch_execz .LBB45_23
; %bb.20:
	v_subrev_u32_e32 v5, 32, v1
	ds_read_b32 v5, v5
	s_waitcnt lgkmcnt(0)
	v_cmp_eq_u32_e32 vcc, v3, v5
	s_and_saveexec_b64 s[2:3], vcc
	s_cbranch_execz .LBB45_22
; %bb.21:
	v_subrev_u32_e32 v5, 32, v4
	ds_read_b32 v5, v5
	s_waitcnt lgkmcnt(0)
	v_add_u32_e32 v2, v5, v2
.LBB45_22:
	s_or_b64 exec, exec, s[2:3]
.LBB45_23:
	s_or_b64 exec, exec, s[0:1]
	v_cmp_lt_u32_e32 vcc, 15, v0
	s_barrier
	ds_write_b32 v4, v2
	s_waitcnt lgkmcnt(0)
	s_barrier
	s_and_saveexec_b64 s[0:1], vcc
	s_cbranch_execz .LBB45_27
; %bb.24:
	v_subrev_u32_e32 v5, 64, v1
	ds_read_b32 v5, v5
	s_waitcnt lgkmcnt(0)
	v_cmp_eq_u32_e32 vcc, v3, v5
	s_and_saveexec_b64 s[2:3], vcc
	s_cbranch_execz .LBB45_26
; %bb.25:
	v_subrev_u32_e32 v5, 64, v4
	ds_read_b32 v5, v5
	s_waitcnt lgkmcnt(0)
	v_add_u32_e32 v2, v5, v2
.LBB45_26:
	s_or_b64 exec, exec, s[2:3]
.LBB45_27:
	s_or_b64 exec, exec, s[0:1]
	v_cmp_lt_u32_e32 vcc, 31, v0
	s_barrier
	ds_write_b32 v4, v2
	s_waitcnt lgkmcnt(0)
	s_barrier
	s_and_saveexec_b64 s[0:1], vcc
	s_cbranch_execz .LBB45_31
; %bb.28:
	v_add_u32_e32 v5, 0xffffff80, v1
	ds_read_b32 v5, v5
	s_waitcnt lgkmcnt(0)
	v_cmp_eq_u32_e32 vcc, v3, v5
	s_and_saveexec_b64 s[2:3], vcc
	s_cbranch_execz .LBB45_30
; %bb.29:
	v_add_u32_e32 v5, 0xffffff80, v4
	ds_read_b32 v5, v5
	s_waitcnt lgkmcnt(0)
	v_add_u32_e32 v2, v5, v2
.LBB45_30:
	s_or_b64 exec, exec, s[2:3]
.LBB45_31:
	s_or_b64 exec, exec, s[0:1]
	v_cmp_lt_u32_e32 vcc, 63, v0
	s_barrier
	ds_write_b32 v4, v2
	s_waitcnt lgkmcnt(0)
	s_barrier
	s_and_saveexec_b64 s[0:1], vcc
	s_cbranch_execz .LBB45_35
; %bb.32:
	v_add_u32_e32 v5, 0xffffff00, v1
	ds_read_b32 v5, v5
	s_waitcnt lgkmcnt(0)
	v_cmp_eq_u32_e32 vcc, v3, v5
	s_and_saveexec_b64 s[2:3], vcc
	s_cbranch_execz .LBB45_34
; %bb.33:
	v_add_u32_e32 v5, 0xffffff00, v4
	ds_read_b32 v5, v5
	s_waitcnt lgkmcnt(0)
	v_add_u32_e32 v2, v5, v2
.LBB45_34:
	s_or_b64 exec, exec, s[2:3]
.LBB45_35:
	s_or_b64 exec, exec, s[0:1]
	s_load_dwordx2 s[2:3], s[4:5], 0x30
	s_movk_i32 s0, 0x7f
	v_cmp_lt_u32_e32 vcc, s0, v0
	s_waitcnt lgkmcnt(0)
	s_barrier
	ds_write_b32 v4, v2
	s_waitcnt lgkmcnt(0)
	s_barrier
	s_and_saveexec_b64 s[0:1], vcc
	s_cbranch_execz .LBB45_39
; %bb.36:
	v_add_u32_e32 v5, 0xfffffe00, v1
	ds_read_b32 v5, v5
	s_waitcnt lgkmcnt(0)
	v_cmp_eq_u32_e32 vcc, v3, v5
	s_and_saveexec_b64 s[4:5], vcc
	s_cbranch_execz .LBB45_38
; %bb.37:
	v_add_u32_e32 v5, 0xfffffe00, v4
	ds_read_b32 v5, v5
	s_waitcnt lgkmcnt(0)
	v_add_u32_e32 v2, v5, v2
.LBB45_38:
	s_or_b64 exec, exec, s[4:5]
.LBB45_39:
	s_or_b64 exec, exec, s[0:1]
	s_movk_i32 s6, 0xff
	v_cmp_gt_u32_e32 vcc, s6, v0
	s_barrier
	ds_write_b32 v4, v2
	s_waitcnt lgkmcnt(0)
	s_barrier
	s_and_saveexec_b64 s[4:5], vcc
	s_cbranch_execz .LBB45_42
; %bb.40:
	ds_read_b32 v1, v1 offset:4
	v_cmp_lt_i32_e64 s[0:1], -1, v3
	s_waitcnt lgkmcnt(0)
	v_cmp_ne_u32_e32 vcc, v3, v1
	s_and_b64 s[0:1], s[0:1], vcc
	s_and_b64 exec, exec, s[0:1]
	s_cbranch_execz .LBB45_42
; %bb.41:
	v_mov_b32_e32 v4, 0
	v_lshlrev_b64 v[4:5], 2, v[3:4]
	v_mul_lo_u32 v6, v2, s7
	v_mov_b32_e32 v1, s3
	v_add_co_u32_e32 v4, vcc, s2, v4
	v_addc_co_u32_e32 v5, vcc, v1, v5, vcc
	global_atomic_add v[4:5], v6, off
.LBB45_42:
	s_or_b64 exec, exec, s[4:5]
	v_cmp_eq_u32_e32 vcc, s6, v0
	v_cmp_lt_i32_e64 s[0:1], -1, v3
	s_and_b64 s[0:1], vcc, s[0:1]
	s_and_saveexec_b64 s[4:5], s[0:1]
	s_cbranch_execz .LBB45_44
; %bb.43:
	v_mov_b32_e32 v4, 0
	v_lshlrev_b64 v[0:1], 2, v[3:4]
	v_mul_lo_u32 v2, v2, s7
	v_mov_b32_e32 v3, s3
	v_add_co_u32_e32 v0, vcc, s2, v0
	v_addc_co_u32_e32 v1, vcc, v3, v1, vcc
	global_atomic_add v[0:1], v2, off
.LBB45_44:
	s_endpgm
	.section	.rodata,"a",@progbits
	.p2align	6, 0x0
	.amdhsa_kernel _ZN9rocsparseL19coomvn_atomic_loopsILj256ELj1EiaaiiEEvlNS_24const_host_device_scalarIT5_EEPKT1_S6_PKT2_PKT3_PT4_21rocsparse_index_base_b
		.amdhsa_group_segment_fixed_size 2048
		.amdhsa_private_segment_fixed_size 0
		.amdhsa_kernarg_size 64
		.amdhsa_user_sgpr_count 6
		.amdhsa_user_sgpr_private_segment_buffer 1
		.amdhsa_user_sgpr_dispatch_ptr 0
		.amdhsa_user_sgpr_queue_ptr 0
		.amdhsa_user_sgpr_kernarg_segment_ptr 1
		.amdhsa_user_sgpr_dispatch_id 0
		.amdhsa_user_sgpr_flat_scratch_init 0
		.amdhsa_user_sgpr_private_segment_size 0
		.amdhsa_uses_dynamic_stack 0
		.amdhsa_system_sgpr_private_segment_wavefront_offset 0
		.amdhsa_system_sgpr_workgroup_id_x 1
		.amdhsa_system_sgpr_workgroup_id_y 0
		.amdhsa_system_sgpr_workgroup_id_z 0
		.amdhsa_system_sgpr_workgroup_info 0
		.amdhsa_system_vgpr_workitem_id 0
		.amdhsa_next_free_vgpr 10
		.amdhsa_next_free_sgpr 18
		.amdhsa_reserve_vcc 1
		.amdhsa_reserve_flat_scratch 0
		.amdhsa_float_round_mode_32 0
		.amdhsa_float_round_mode_16_64 0
		.amdhsa_float_denorm_mode_32 3
		.amdhsa_float_denorm_mode_16_64 3
		.amdhsa_dx10_clamp 1
		.amdhsa_ieee_mode 1
		.amdhsa_fp16_overflow 0
		.amdhsa_exception_fp_ieee_invalid_op 0
		.amdhsa_exception_fp_denorm_src 0
		.amdhsa_exception_fp_ieee_div_zero 0
		.amdhsa_exception_fp_ieee_overflow 0
		.amdhsa_exception_fp_ieee_underflow 0
		.amdhsa_exception_fp_ieee_inexact 0
		.amdhsa_exception_int_div_zero 0
	.end_amdhsa_kernel
	.section	.text._ZN9rocsparseL19coomvn_atomic_loopsILj256ELj1EiaaiiEEvlNS_24const_host_device_scalarIT5_EEPKT1_S6_PKT2_PKT3_PT4_21rocsparse_index_base_b,"axG",@progbits,_ZN9rocsparseL19coomvn_atomic_loopsILj256ELj1EiaaiiEEvlNS_24const_host_device_scalarIT5_EEPKT1_S6_PKT2_PKT3_PT4_21rocsparse_index_base_b,comdat
.Lfunc_end45:
	.size	_ZN9rocsparseL19coomvn_atomic_loopsILj256ELj1EiaaiiEEvlNS_24const_host_device_scalarIT5_EEPKT1_S6_PKT2_PKT3_PT4_21rocsparse_index_base_b, .Lfunc_end45-_ZN9rocsparseL19coomvn_atomic_loopsILj256ELj1EiaaiiEEvlNS_24const_host_device_scalarIT5_EEPKT1_S6_PKT2_PKT3_PT4_21rocsparse_index_base_b
                                        ; -- End function
	.set _ZN9rocsparseL19coomvn_atomic_loopsILj256ELj1EiaaiiEEvlNS_24const_host_device_scalarIT5_EEPKT1_S6_PKT2_PKT3_PT4_21rocsparse_index_base_b.num_vgpr, 10
	.set _ZN9rocsparseL19coomvn_atomic_loopsILj256ELj1EiaaiiEEvlNS_24const_host_device_scalarIT5_EEPKT1_S6_PKT2_PKT3_PT4_21rocsparse_index_base_b.num_agpr, 0
	.set _ZN9rocsparseL19coomvn_atomic_loopsILj256ELj1EiaaiiEEvlNS_24const_host_device_scalarIT5_EEPKT1_S6_PKT2_PKT3_PT4_21rocsparse_index_base_b.numbered_sgpr, 18
	.set _ZN9rocsparseL19coomvn_atomic_loopsILj256ELj1EiaaiiEEvlNS_24const_host_device_scalarIT5_EEPKT1_S6_PKT2_PKT3_PT4_21rocsparse_index_base_b.num_named_barrier, 0
	.set _ZN9rocsparseL19coomvn_atomic_loopsILj256ELj1EiaaiiEEvlNS_24const_host_device_scalarIT5_EEPKT1_S6_PKT2_PKT3_PT4_21rocsparse_index_base_b.private_seg_size, 0
	.set _ZN9rocsparseL19coomvn_atomic_loopsILj256ELj1EiaaiiEEvlNS_24const_host_device_scalarIT5_EEPKT1_S6_PKT2_PKT3_PT4_21rocsparse_index_base_b.uses_vcc, 1
	.set _ZN9rocsparseL19coomvn_atomic_loopsILj256ELj1EiaaiiEEvlNS_24const_host_device_scalarIT5_EEPKT1_S6_PKT2_PKT3_PT4_21rocsparse_index_base_b.uses_flat_scratch, 0
	.set _ZN9rocsparseL19coomvn_atomic_loopsILj256ELj1EiaaiiEEvlNS_24const_host_device_scalarIT5_EEPKT1_S6_PKT2_PKT3_PT4_21rocsparse_index_base_b.has_dyn_sized_stack, 0
	.set _ZN9rocsparseL19coomvn_atomic_loopsILj256ELj1EiaaiiEEvlNS_24const_host_device_scalarIT5_EEPKT1_S6_PKT2_PKT3_PT4_21rocsparse_index_base_b.has_recursion, 0
	.set _ZN9rocsparseL19coomvn_atomic_loopsILj256ELj1EiaaiiEEvlNS_24const_host_device_scalarIT5_EEPKT1_S6_PKT2_PKT3_PT4_21rocsparse_index_base_b.has_indirect_call, 0
	.section	.AMDGPU.csdata,"",@progbits
; Kernel info:
; codeLenInByte = 1160
; TotalNumSgprs: 22
; NumVgprs: 10
; ScratchSize: 0
; MemoryBound: 0
; FloatMode: 240
; IeeeMode: 1
; LDSByteSize: 2048 bytes/workgroup (compile time only)
; SGPRBlocks: 2
; VGPRBlocks: 2
; NumSGPRsForWavesPerEU: 22
; NumVGPRsForWavesPerEU: 10
; Occupancy: 10
; WaveLimiterHint : 1
; COMPUTE_PGM_RSRC2:SCRATCH_EN: 0
; COMPUTE_PGM_RSRC2:USER_SGPR: 6
; COMPUTE_PGM_RSRC2:TRAP_HANDLER: 0
; COMPUTE_PGM_RSRC2:TGID_X_EN: 1
; COMPUTE_PGM_RSRC2:TGID_Y_EN: 0
; COMPUTE_PGM_RSRC2:TGID_Z_EN: 0
; COMPUTE_PGM_RSRC2:TIDIG_COMP_CNT: 0
	.section	.text._ZN9rocsparseL19coomvn_atomic_loopsILj256ELj2EiaaiiEEvlNS_24const_host_device_scalarIT5_EEPKT1_S6_PKT2_PKT3_PT4_21rocsparse_index_base_b,"axG",@progbits,_ZN9rocsparseL19coomvn_atomic_loopsILj256ELj2EiaaiiEEvlNS_24const_host_device_scalarIT5_EEPKT1_S6_PKT2_PKT3_PT4_21rocsparse_index_base_b,comdat
	.globl	_ZN9rocsparseL19coomvn_atomic_loopsILj256ELj2EiaaiiEEvlNS_24const_host_device_scalarIT5_EEPKT1_S6_PKT2_PKT3_PT4_21rocsparse_index_base_b ; -- Begin function _ZN9rocsparseL19coomvn_atomic_loopsILj256ELj2EiaaiiEEvlNS_24const_host_device_scalarIT5_EEPKT1_S6_PKT2_PKT3_PT4_21rocsparse_index_base_b
	.p2align	8
	.type	_ZN9rocsparseL19coomvn_atomic_loopsILj256ELj2EiaaiiEEvlNS_24const_host_device_scalarIT5_EEPKT1_S6_PKT2_PKT3_PT4_21rocsparse_index_base_b,@function
_ZN9rocsparseL19coomvn_atomic_loopsILj256ELj2EiaaiiEEvlNS_24const_host_device_scalarIT5_EEPKT1_S6_PKT2_PKT3_PT4_21rocsparse_index_base_b: ; @_ZN9rocsparseL19coomvn_atomic_loopsILj256ELj2EiaaiiEEvlNS_24const_host_device_scalarIT5_EEPKT1_S6_PKT2_PKT3_PT4_21rocsparse_index_base_b
; %bb.0:
	s_load_dwordx2 s[34:35], s[4:5], 0x38
	s_load_dwordx4 s[36:39], s[4:5], 0x0
	s_waitcnt lgkmcnt(0)
	s_bitcmp0_b32 s35, 0
	s_cbranch_scc0 .LBB46_2
; %bb.1:
	s_load_dword s33, s[38:39], 0x0
	s_cbranch_execz .LBB46_3
	s_branch .LBB46_4
.LBB46_2:
                                        ; implicit-def: $sgpr33
.LBB46_3:
	s_waitcnt lgkmcnt(0)
	s_mov_b32 s33, s38
.LBB46_4:
	s_waitcnt lgkmcnt(0)
	s_cmp_eq_u32 s33, 0
	s_cbranch_scc1 .LBB46_90
; %bb.5:
	s_load_dwordx8 s[24:31], s[4:5], 0x10
	v_lshl_or_b32 v1, s6, 9, v0
	v_mov_b32_e32 v2, 0
	v_cmp_gt_i64_e32 vcc, s[36:37], v[1:2]
	v_lshlrev_b64 v[3:4], 2, v[1:2]
	v_mov_b32_e32 v5, -1
	s_and_saveexec_b64 s[0:1], vcc
	s_cbranch_execz .LBB46_7
; %bb.6:
	s_waitcnt lgkmcnt(0)
	v_mov_b32_e32 v2, s27
	v_add_co_u32_e32 v5, vcc, s26, v3
	v_addc_co_u32_e32 v6, vcc, v2, v4, vcc
	global_load_dword v2, v[5:6], off glc slc
	v_mov_b32_e32 v6, s25
	v_add_co_u32_e32 v5, vcc, s24, v3
	v_addc_co_u32_e32 v6, vcc, v6, v4, vcc
	v_mov_b32_e32 v8, s29
	v_add_co_u32_e32 v7, vcc, s28, v1
	v_addc_co_u32_e32 v8, vcc, 0, v8, vcc
	v_mov_b32_e32 v9, s31
	global_load_dword v10, v[5:6], off glc slc
	global_load_sbyte v11, v[7:8], off glc slc
	s_waitcnt vmcnt(2)
	v_subrev_u32_e32 v2, s34, v2
	v_ashrrev_i32_e32 v6, 31, v2
	v_add_co_u32_e32 v5, vcc, s30, v2
	v_addc_co_u32_e32 v6, vcc, v9, v6, vcc
	global_load_sbyte v2, v[5:6], off
	s_waitcnt vmcnt(2)
	v_subrev_u32_e32 v5, s34, v10
	s_waitcnt vmcnt(0)
	v_mul_i32_i24_e32 v2, v2, v11
.LBB46_7:
	s_or_b64 exec, exec, s[0:1]
	v_lshlrev_b32_e32 v7, 2, v0
	v_or_b32_e32 v8, 0x400, v7
	v_cmp_eq_u32_e64 s[18:19], 0, v0
	v_cmp_ne_u32_e64 s[0:1], 0, v0
	v_add_u32_e32 v9, -4, v7
	ds_write2st64_b32 v7, v5, v2 offset1:4
	s_waitcnt lgkmcnt(0)
	s_barrier
	s_and_saveexec_b64 s[2:3], s[0:1]
	s_cbranch_execz .LBB46_11
; %bb.8:
	ds_read_b32 v6, v9
	s_waitcnt lgkmcnt(0)
	v_cmp_eq_u32_e32 vcc, v5, v6
	s_and_saveexec_b64 s[6:7], vcc
	s_cbranch_execz .LBB46_10
; %bb.9:
	v_add_u32_e32 v6, -4, v8
	ds_read_b32 v6, v6
	s_waitcnt lgkmcnt(0)
	v_add_u32_e32 v2, v6, v2
.LBB46_10:
	s_or_b64 exec, exec, s[6:7]
.LBB46_11:
	s_or_b64 exec, exec, s[2:3]
	v_cmp_lt_u32_e64 s[2:3], 1, v0
	v_add_u32_e32 v10, -8, v7
	s_barrier
	ds_write_b32 v8, v2
	s_waitcnt lgkmcnt(0)
	s_barrier
	s_and_saveexec_b64 s[6:7], s[2:3]
	s_cbranch_execz .LBB46_15
; %bb.12:
	ds_read_b32 v6, v10
	s_waitcnt lgkmcnt(0)
	v_cmp_eq_u32_e32 vcc, v5, v6
	s_and_saveexec_b64 s[8:9], vcc
	s_cbranch_execz .LBB46_14
; %bb.13:
	v_add_u32_e32 v6, -8, v8
	ds_read_b32 v6, v6
	s_waitcnt lgkmcnt(0)
	v_add_u32_e32 v2, v6, v2
.LBB46_14:
	s_or_b64 exec, exec, s[8:9]
.LBB46_15:
	s_or_b64 exec, exec, s[6:7]
	v_cmp_lt_u32_e64 s[20:21], 3, v0
	v_add_u32_e32 v11, -16, v7
	s_barrier
	ds_write_b32 v8, v2
	s_waitcnt lgkmcnt(0)
	s_barrier
	s_and_saveexec_b64 s[6:7], s[20:21]
	s_cbranch_execz .LBB46_19
; %bb.16:
	ds_read_b32 v6, v11
	s_waitcnt lgkmcnt(0)
	v_cmp_eq_u32_e32 vcc, v5, v6
	s_and_saveexec_b64 s[8:9], vcc
	s_cbranch_execz .LBB46_18
; %bb.17:
	v_add_u32_e32 v6, -16, v8
	ds_read_b32 v6, v6
	s_waitcnt lgkmcnt(0)
	v_add_u32_e32 v2, v6, v2
.LBB46_18:
	s_or_b64 exec, exec, s[8:9]
.LBB46_19:
	s_or_b64 exec, exec, s[6:7]
	v_cmp_lt_u32_e64 s[6:7], 7, v0
	v_subrev_u32_e32 v12, 32, v7
	s_barrier
	ds_write_b32 v8, v2
	s_waitcnt lgkmcnt(0)
	s_barrier
	s_and_saveexec_b64 s[8:9], s[6:7]
	s_cbranch_execz .LBB46_23
; %bb.20:
	ds_read_b32 v6, v12
	s_waitcnt lgkmcnt(0)
	v_cmp_eq_u32_e32 vcc, v5, v6
	s_and_saveexec_b64 s[10:11], vcc
	s_cbranch_execz .LBB46_22
; %bb.21:
	v_subrev_u32_e32 v6, 32, v8
	ds_read_b32 v6, v6
	s_waitcnt lgkmcnt(0)
	v_add_u32_e32 v2, v6, v2
.LBB46_22:
	s_or_b64 exec, exec, s[10:11]
.LBB46_23:
	s_or_b64 exec, exec, s[8:9]
	v_cmp_lt_u32_e64 s[8:9], 15, v0
	v_subrev_u32_e32 v13, 64, v7
	s_barrier
	ds_write_b32 v8, v2
	s_waitcnt lgkmcnt(0)
	s_barrier
	s_and_saveexec_b64 s[10:11], s[8:9]
	s_cbranch_execz .LBB46_27
; %bb.24:
	ds_read_b32 v6, v13
	s_waitcnt lgkmcnt(0)
	v_cmp_eq_u32_e32 vcc, v5, v6
	s_and_saveexec_b64 s[12:13], vcc
	s_cbranch_execz .LBB46_26
; %bb.25:
	v_subrev_u32_e32 v6, 64, v8
	ds_read_b32 v6, v6
	s_waitcnt lgkmcnt(0)
	v_add_u32_e32 v2, v6, v2
.LBB46_26:
	s_or_b64 exec, exec, s[12:13]
.LBB46_27:
	s_or_b64 exec, exec, s[10:11]
	v_cmp_lt_u32_e64 s[10:11], 31, v0
	s_barrier
	ds_write_b32 v8, v2
	s_waitcnt lgkmcnt(0)
	s_barrier
	s_and_saveexec_b64 s[12:13], s[10:11]
	s_cbranch_execz .LBB46_31
; %bb.28:
	v_add_u32_e32 v6, 0xffffff80, v7
	ds_read_b32 v6, v6
	s_waitcnt lgkmcnt(0)
	v_cmp_eq_u32_e32 vcc, v5, v6
	s_and_saveexec_b64 s[14:15], vcc
	s_cbranch_execz .LBB46_30
; %bb.29:
	v_add_u32_e32 v6, 0xffffff80, v8
	ds_read_b32 v6, v6
	s_waitcnt lgkmcnt(0)
	v_add_u32_e32 v2, v6, v2
.LBB46_30:
	s_or_b64 exec, exec, s[14:15]
.LBB46_31:
	s_or_b64 exec, exec, s[12:13]
	v_cmp_lt_u32_e64 s[12:13], 63, v0
	s_barrier
	ds_write_b32 v8, v2
	s_waitcnt lgkmcnt(0)
	s_barrier
	s_and_saveexec_b64 s[14:15], s[12:13]
	s_cbranch_execz .LBB46_35
; %bb.32:
	v_add_u32_e32 v6, 0xffffff00, v7
	ds_read_b32 v6, v6
	s_waitcnt lgkmcnt(0)
	v_cmp_eq_u32_e32 vcc, v5, v6
	s_and_saveexec_b64 s[16:17], vcc
	s_cbranch_execz .LBB46_34
; %bb.33:
	v_add_u32_e32 v6, 0xffffff00, v8
	ds_read_b32 v6, v6
	s_waitcnt lgkmcnt(0)
	v_add_u32_e32 v2, v6, v2
.LBB46_34:
	s_or_b64 exec, exec, s[16:17]
.LBB46_35:
	s_or_b64 exec, exec, s[14:15]
	s_load_dwordx2 s[22:23], s[4:5], 0x30
	s_movk_i32 s4, 0x7f
	v_cmp_lt_u32_e64 s[14:15], s4, v0
	s_waitcnt lgkmcnt(0)
	s_barrier
	ds_write_b32 v8, v2
	s_waitcnt lgkmcnt(0)
	s_barrier
	s_and_saveexec_b64 s[4:5], s[14:15]
	s_cbranch_execz .LBB46_39
; %bb.36:
	v_add_u32_e32 v6, 0xfffffe00, v7
	ds_read_b32 v6, v6
	s_waitcnt lgkmcnt(0)
	v_cmp_eq_u32_e32 vcc, v5, v6
	s_and_saveexec_b64 s[16:17], vcc
	s_cbranch_execz .LBB46_38
; %bb.37:
	v_add_u32_e32 v6, 0xfffffe00, v8
	ds_read_b32 v6, v6
	s_waitcnt lgkmcnt(0)
	v_add_u32_e32 v2, v6, v2
.LBB46_38:
	s_or_b64 exec, exec, s[16:17]
.LBB46_39:
	s_or_b64 exec, exec, s[4:5]
	s_movk_i32 s4, 0xff
	v_cmp_gt_u32_e64 s[16:17], s4, v0
	s_barrier
	ds_write_b32 v8, v2
	s_waitcnt lgkmcnt(0)
	s_barrier
	s_and_saveexec_b64 s[38:39], s[16:17]
	s_cbranch_execz .LBB46_42
; %bb.40:
	ds_read_b32 v6, v7 offset:4
	v_cmp_lt_i32_e64 s[4:5], -1, v5
	s_waitcnt lgkmcnt(0)
	v_cmp_ne_u32_e32 vcc, v5, v6
	s_and_b64 s[4:5], s[4:5], vcc
	s_and_b64 exec, exec, s[4:5]
	s_cbranch_execz .LBB46_42
; %bb.41:
	v_mov_b32_e32 v6, 0
	v_lshlrev_b64 v[5:6], 2, v[5:6]
	v_mul_lo_u32 v2, v2, s33
	v_mov_b32_e32 v14, s23
	v_add_co_u32_e32 v5, vcc, s22, v5
	v_addc_co_u32_e32 v6, vcc, v14, v6, vcc
	global_atomic_add v[5:6], v2, off
.LBB46_42:
	s_or_b64 exec, exec, s[38:39]
	v_add_co_u32_e32 v5, vcc, 0x100, v1
	v_addc_co_u32_e64 v6, s[4:5], 0, 0, vcc
	v_cmp_gt_i64_e32 vcc, s[36:37], v[5:6]
	v_mov_b32_e32 v2, -1
	v_mov_b32_e32 v5, 0
	s_and_saveexec_b64 s[4:5], vcc
	s_cbranch_execz .LBB46_44
; %bb.43:
	v_mov_b32_e32 v2, s27
	v_add_co_u32_e32 v5, vcc, s26, v3
	v_addc_co_u32_e32 v6, vcc, v2, v4, vcc
	global_load_dword v6, v[5:6], off offset:1024 glc slc
	v_mov_b32_e32 v5, s25
	v_add_co_u32_e32 v2, vcc, s24, v3
	v_addc_co_u32_e32 v3, vcc, v5, v4, vcc
	v_mov_b32_e32 v14, s29
	v_add_co_u32_e32 v4, vcc, s28, v1
	v_addc_co_u32_e32 v5, vcc, 0, v14, vcc
	v_mov_b32_e32 v15, s31
	global_load_dword v14, v[2:3], off offset:1024 glc slc
	global_load_sbyte v16, v[4:5], off offset:256 glc slc
	s_waitcnt vmcnt(2)
	v_subrev_u32_e32 v1, s34, v6
	v_ashrrev_i32_e32 v2, 31, v1
	v_add_co_u32_e32 v1, vcc, s30, v1
	v_addc_co_u32_e32 v2, vcc, v15, v2, vcc
	global_load_sbyte v1, v[1:2], off
	s_waitcnt vmcnt(2)
	v_subrev_u32_e32 v2, s34, v14
	s_waitcnt vmcnt(0)
	v_mul_i32_i24_e32 v5, v1, v16
.LBB46_44:
	s_or_b64 exec, exec, s[4:5]
	s_and_saveexec_b64 s[4:5], s[18:19]
	s_cbranch_execz .LBB46_53
; %bb.45:
	v_mov_b32_e32 v1, 0
	ds_read_b32 v1, v1 offset:1020
	s_waitcnt lgkmcnt(0)
	v_readfirstlane_b32 s24, v1
	v_cmp_ne_u32_e32 vcc, v2, v1
	s_and_saveexec_b64 s[18:19], vcc
	s_xor_b64 s[18:19], exec, s[18:19]
	s_cbranch_execz .LBB46_50
; %bb.46:
	s_cmp_lt_i32 s24, 0
	s_cbranch_scc1 .LBB46_50
; %bb.47:
	s_mov_b64 s[28:29], exec
	v_mbcnt_lo_u32_b32 v1, s28, 0
	v_mbcnt_hi_u32_b32 v1, s29, v1
	v_cmp_eq_u32_e32 vcc, 0, v1
	s_and_saveexec_b64 s[26:27], vcc
	s_cbranch_execz .LBB46_49
; %bb.48:
	v_mov_b32_e32 v1, 0
	ds_read_b32 v3, v1 offset:2044
	s_mov_b32 s25, 0
	s_lshl_b64 s[24:25], s[24:25], 2
	s_add_u32 s24, s22, s24
	s_addc_u32 s25, s23, s25
	s_waitcnt lgkmcnt(0)
	v_mul_lo_u32 v3, v3, s33
	s_bcnt1_i32_b64 s28, s[28:29]
	v_mul_lo_u32 v3, v3, s28
	global_atomic_add v1, v3, s[24:25]
.LBB46_49:
	s_or_b64 exec, exec, s[26:27]
.LBB46_50:
	s_andn2_saveexec_b64 s[18:19], s[18:19]
	s_cbranch_execz .LBB46_52
; %bb.51:
	v_mov_b32_e32 v1, 0
	ds_read_b32 v1, v1 offset:2044
	s_waitcnt lgkmcnt(0)
	v_add_u32_e32 v5, v1, v5
.LBB46_52:
	s_or_b64 exec, exec, s[18:19]
.LBB46_53:
	s_or_b64 exec, exec, s[4:5]
	s_waitcnt vmcnt(0)
	s_barrier
	ds_write_b32 v7, v2
	ds_write_b32 v8, v5
	s_waitcnt lgkmcnt(0)
	s_barrier
	s_and_saveexec_b64 s[4:5], s[0:1]
	s_cbranch_execz .LBB46_57
; %bb.54:
	ds_read_b32 v1, v9
	s_waitcnt lgkmcnt(0)
	v_cmp_eq_u32_e32 vcc, v2, v1
	s_and_saveexec_b64 s[0:1], vcc
	s_cbranch_execz .LBB46_56
; %bb.55:
	v_add_u32_e32 v1, -4, v8
	ds_read_b32 v1, v1
	s_waitcnt lgkmcnt(0)
	v_add_u32_e32 v5, v1, v5
.LBB46_56:
	s_or_b64 exec, exec, s[0:1]
.LBB46_57:
	s_or_b64 exec, exec, s[4:5]
	s_barrier
	ds_write_b32 v8, v5
	s_waitcnt lgkmcnt(0)
	s_barrier
	s_and_saveexec_b64 s[0:1], s[2:3]
	s_cbranch_execz .LBB46_61
; %bb.58:
	ds_read_b32 v1, v10
	s_waitcnt lgkmcnt(0)
	v_cmp_eq_u32_e32 vcc, v2, v1
	s_and_saveexec_b64 s[2:3], vcc
	s_cbranch_execz .LBB46_60
; %bb.59:
	v_add_u32_e32 v1, -8, v8
	ds_read_b32 v1, v1
	s_waitcnt lgkmcnt(0)
	v_add_u32_e32 v5, v1, v5
.LBB46_60:
	s_or_b64 exec, exec, s[2:3]
.LBB46_61:
	s_or_b64 exec, exec, s[0:1]
	s_barrier
	;; [unrolled: 21-line block ×3, first 2 shown]
	ds_write_b32 v8, v5
	s_waitcnt lgkmcnt(0)
	s_barrier
	s_and_saveexec_b64 s[0:1], s[6:7]
	s_cbranch_execz .LBB46_69
; %bb.66:
	ds_read_b32 v1, v12
	s_waitcnt lgkmcnt(0)
	v_cmp_eq_u32_e32 vcc, v2, v1
	s_and_saveexec_b64 s[2:3], vcc
	s_cbranch_execz .LBB46_68
; %bb.67:
	v_subrev_u32_e32 v1, 32, v8
	ds_read_b32 v1, v1
	s_waitcnt lgkmcnt(0)
	v_add_u32_e32 v5, v1, v5
.LBB46_68:
	s_or_b64 exec, exec, s[2:3]
.LBB46_69:
	s_or_b64 exec, exec, s[0:1]
	s_barrier
	ds_write_b32 v8, v5
	s_waitcnt lgkmcnt(0)
	s_barrier
	s_and_saveexec_b64 s[0:1], s[8:9]
	s_cbranch_execz .LBB46_73
; %bb.70:
	ds_read_b32 v1, v13
	s_waitcnt lgkmcnt(0)
	v_cmp_eq_u32_e32 vcc, v2, v1
	s_and_saveexec_b64 s[2:3], vcc
	s_cbranch_execz .LBB46_72
; %bb.71:
	v_subrev_u32_e32 v1, 64, v8
	ds_read_b32 v1, v1
	s_waitcnt lgkmcnt(0)
	v_add_u32_e32 v5, v1, v5
.LBB46_72:
	s_or_b64 exec, exec, s[2:3]
.LBB46_73:
	s_or_b64 exec, exec, s[0:1]
	s_barrier
	ds_write_b32 v8, v5
	s_waitcnt lgkmcnt(0)
	s_barrier
	s_and_saveexec_b64 s[0:1], s[10:11]
	s_cbranch_execz .LBB46_77
; %bb.74:
	v_add_u32_e32 v1, 0xffffff80, v7
	ds_read_b32 v1, v1
	s_waitcnt lgkmcnt(0)
	v_cmp_eq_u32_e32 vcc, v2, v1
	s_and_saveexec_b64 s[2:3], vcc
	s_cbranch_execz .LBB46_76
; %bb.75:
	v_add_u32_e32 v1, 0xffffff80, v8
	ds_read_b32 v1, v1
	s_waitcnt lgkmcnt(0)
	v_add_u32_e32 v5, v1, v5
.LBB46_76:
	s_or_b64 exec, exec, s[2:3]
.LBB46_77:
	s_or_b64 exec, exec, s[0:1]
	s_barrier
	ds_write_b32 v8, v5
	s_waitcnt lgkmcnt(0)
	s_barrier
	s_and_saveexec_b64 s[0:1], s[12:13]
	s_cbranch_execz .LBB46_81
; %bb.78:
	v_add_u32_e32 v1, 0xffffff00, v7
	ds_read_b32 v1, v1
	s_waitcnt lgkmcnt(0)
	v_cmp_eq_u32_e32 vcc, v2, v1
	s_and_saveexec_b64 s[2:3], vcc
	s_cbranch_execz .LBB46_80
; %bb.79:
	v_add_u32_e32 v1, 0xffffff00, v8
	ds_read_b32 v1, v1
	s_waitcnt lgkmcnt(0)
	v_add_u32_e32 v5, v1, v5
.LBB46_80:
	s_or_b64 exec, exec, s[2:3]
.LBB46_81:
	;; [unrolled: 22-line block ×3, first 2 shown]
	s_or_b64 exec, exec, s[0:1]
	s_barrier
	ds_write_b32 v8, v5
	s_waitcnt lgkmcnt(0)
	s_barrier
	s_and_saveexec_b64 s[2:3], s[16:17]
	s_cbranch_execz .LBB46_88
; %bb.86:
	ds_read_b32 v1, v7 offset:4
	v_cmp_lt_i32_e64 s[0:1], -1, v2
	s_waitcnt lgkmcnt(0)
	v_cmp_ne_u32_e32 vcc, v2, v1
	s_and_b64 s[0:1], s[0:1], vcc
	s_and_b64 exec, exec, s[0:1]
	s_cbranch_execz .LBB46_88
; %bb.87:
	v_mov_b32_e32 v3, 0
	v_lshlrev_b64 v[3:4], 2, v[2:3]
	v_mul_lo_u32 v6, v5, s33
	v_mov_b32_e32 v1, s23
	v_add_co_u32_e32 v3, vcc, s22, v3
	v_addc_co_u32_e32 v4, vcc, v1, v4, vcc
	global_atomic_add v[3:4], v6, off
.LBB46_88:
	s_or_b64 exec, exec, s[2:3]
	s_movk_i32 s0, 0xff
	v_cmp_eq_u32_e32 vcc, s0, v0
	v_cmp_lt_i32_e64 s[0:1], -1, v2
	s_and_b64 s[0:1], vcc, s[0:1]
	s_and_saveexec_b64 s[2:3], s[0:1]
	s_cbranch_execz .LBB46_90
; %bb.89:
	v_mov_b32_e32 v3, 0
	v_lshlrev_b64 v[0:1], 2, v[2:3]
	v_mul_lo_u32 v3, v5, s33
	v_mov_b32_e32 v2, s23
	v_add_co_u32_e32 v0, vcc, s22, v0
	v_addc_co_u32_e32 v1, vcc, v2, v1, vcc
	global_atomic_add v[0:1], v3, off
.LBB46_90:
	s_endpgm
	.section	.rodata,"a",@progbits
	.p2align	6, 0x0
	.amdhsa_kernel _ZN9rocsparseL19coomvn_atomic_loopsILj256ELj2EiaaiiEEvlNS_24const_host_device_scalarIT5_EEPKT1_S6_PKT2_PKT3_PT4_21rocsparse_index_base_b
		.amdhsa_group_segment_fixed_size 2048
		.amdhsa_private_segment_fixed_size 0
		.amdhsa_kernarg_size 64
		.amdhsa_user_sgpr_count 6
		.amdhsa_user_sgpr_private_segment_buffer 1
		.amdhsa_user_sgpr_dispatch_ptr 0
		.amdhsa_user_sgpr_queue_ptr 0
		.amdhsa_user_sgpr_kernarg_segment_ptr 1
		.amdhsa_user_sgpr_dispatch_id 0
		.amdhsa_user_sgpr_flat_scratch_init 0
		.amdhsa_user_sgpr_private_segment_size 0
		.amdhsa_uses_dynamic_stack 0
		.amdhsa_system_sgpr_private_segment_wavefront_offset 0
		.amdhsa_system_sgpr_workgroup_id_x 1
		.amdhsa_system_sgpr_workgroup_id_y 0
		.amdhsa_system_sgpr_workgroup_id_z 0
		.amdhsa_system_sgpr_workgroup_info 0
		.amdhsa_system_vgpr_workitem_id 0
		.amdhsa_next_free_vgpr 17
		.amdhsa_next_free_sgpr 40
		.amdhsa_reserve_vcc 1
		.amdhsa_reserve_flat_scratch 0
		.amdhsa_float_round_mode_32 0
		.amdhsa_float_round_mode_16_64 0
		.amdhsa_float_denorm_mode_32 3
		.amdhsa_float_denorm_mode_16_64 3
		.amdhsa_dx10_clamp 1
		.amdhsa_ieee_mode 1
		.amdhsa_fp16_overflow 0
		.amdhsa_exception_fp_ieee_invalid_op 0
		.amdhsa_exception_fp_denorm_src 0
		.amdhsa_exception_fp_ieee_div_zero 0
		.amdhsa_exception_fp_ieee_overflow 0
		.amdhsa_exception_fp_ieee_underflow 0
		.amdhsa_exception_fp_ieee_inexact 0
		.amdhsa_exception_int_div_zero 0
	.end_amdhsa_kernel
	.section	.text._ZN9rocsparseL19coomvn_atomic_loopsILj256ELj2EiaaiiEEvlNS_24const_host_device_scalarIT5_EEPKT1_S6_PKT2_PKT3_PT4_21rocsparse_index_base_b,"axG",@progbits,_ZN9rocsparseL19coomvn_atomic_loopsILj256ELj2EiaaiiEEvlNS_24const_host_device_scalarIT5_EEPKT1_S6_PKT2_PKT3_PT4_21rocsparse_index_base_b,comdat
.Lfunc_end46:
	.size	_ZN9rocsparseL19coomvn_atomic_loopsILj256ELj2EiaaiiEEvlNS_24const_host_device_scalarIT5_EEPKT1_S6_PKT2_PKT3_PT4_21rocsparse_index_base_b, .Lfunc_end46-_ZN9rocsparseL19coomvn_atomic_loopsILj256ELj2EiaaiiEEvlNS_24const_host_device_scalarIT5_EEPKT1_S6_PKT2_PKT3_PT4_21rocsparse_index_base_b
                                        ; -- End function
	.set _ZN9rocsparseL19coomvn_atomic_loopsILj256ELj2EiaaiiEEvlNS_24const_host_device_scalarIT5_EEPKT1_S6_PKT2_PKT3_PT4_21rocsparse_index_base_b.num_vgpr, 17
	.set _ZN9rocsparseL19coomvn_atomic_loopsILj256ELj2EiaaiiEEvlNS_24const_host_device_scalarIT5_EEPKT1_S6_PKT2_PKT3_PT4_21rocsparse_index_base_b.num_agpr, 0
	.set _ZN9rocsparseL19coomvn_atomic_loopsILj256ELj2EiaaiiEEvlNS_24const_host_device_scalarIT5_EEPKT1_S6_PKT2_PKT3_PT4_21rocsparse_index_base_b.numbered_sgpr, 40
	.set _ZN9rocsparseL19coomvn_atomic_loopsILj256ELj2EiaaiiEEvlNS_24const_host_device_scalarIT5_EEPKT1_S6_PKT2_PKT3_PT4_21rocsparse_index_base_b.num_named_barrier, 0
	.set _ZN9rocsparseL19coomvn_atomic_loopsILj256ELj2EiaaiiEEvlNS_24const_host_device_scalarIT5_EEPKT1_S6_PKT2_PKT3_PT4_21rocsparse_index_base_b.private_seg_size, 0
	.set _ZN9rocsparseL19coomvn_atomic_loopsILj256ELj2EiaaiiEEvlNS_24const_host_device_scalarIT5_EEPKT1_S6_PKT2_PKT3_PT4_21rocsparse_index_base_b.uses_vcc, 1
	.set _ZN9rocsparseL19coomvn_atomic_loopsILj256ELj2EiaaiiEEvlNS_24const_host_device_scalarIT5_EEPKT1_S6_PKT2_PKT3_PT4_21rocsparse_index_base_b.uses_flat_scratch, 0
	.set _ZN9rocsparseL19coomvn_atomic_loopsILj256ELj2EiaaiiEEvlNS_24const_host_device_scalarIT5_EEPKT1_S6_PKT2_PKT3_PT4_21rocsparse_index_base_b.has_dyn_sized_stack, 0
	.set _ZN9rocsparseL19coomvn_atomic_loopsILj256ELj2EiaaiiEEvlNS_24const_host_device_scalarIT5_EEPKT1_S6_PKT2_PKT3_PT4_21rocsparse_index_base_b.has_recursion, 0
	.set _ZN9rocsparseL19coomvn_atomic_loopsILj256ELj2EiaaiiEEvlNS_24const_host_device_scalarIT5_EEPKT1_S6_PKT2_PKT3_PT4_21rocsparse_index_base_b.has_indirect_call, 0
	.section	.AMDGPU.csdata,"",@progbits
; Kernel info:
; codeLenInByte = 2336
; TotalNumSgprs: 44
; NumVgprs: 17
; ScratchSize: 0
; MemoryBound: 0
; FloatMode: 240
; IeeeMode: 1
; LDSByteSize: 2048 bytes/workgroup (compile time only)
; SGPRBlocks: 5
; VGPRBlocks: 4
; NumSGPRsForWavesPerEU: 44
; NumVGPRsForWavesPerEU: 17
; Occupancy: 10
; WaveLimiterHint : 1
; COMPUTE_PGM_RSRC2:SCRATCH_EN: 0
; COMPUTE_PGM_RSRC2:USER_SGPR: 6
; COMPUTE_PGM_RSRC2:TRAP_HANDLER: 0
; COMPUTE_PGM_RSRC2:TGID_X_EN: 1
; COMPUTE_PGM_RSRC2:TGID_Y_EN: 0
; COMPUTE_PGM_RSRC2:TGID_Z_EN: 0
; COMPUTE_PGM_RSRC2:TIDIG_COMP_CNT: 0
	.section	.text._ZN9rocsparseL22coomvn_segmented_loopsILj256ElaaiiEEvlT0_NS_24const_host_device_scalarIT4_EEPKS1_S6_PKT1_PKT2_PT3_PS1_PS3_21rocsparse_index_base_b,"axG",@progbits,_ZN9rocsparseL22coomvn_segmented_loopsILj256ElaaiiEEvlT0_NS_24const_host_device_scalarIT4_EEPKS1_S6_PKT1_PKT2_PT3_PS1_PS3_21rocsparse_index_base_b,comdat
	.globl	_ZN9rocsparseL22coomvn_segmented_loopsILj256ElaaiiEEvlT0_NS_24const_host_device_scalarIT4_EEPKS1_S6_PKT1_PKT2_PT3_PS1_PS3_21rocsparse_index_base_b ; -- Begin function _ZN9rocsparseL22coomvn_segmented_loopsILj256ElaaiiEEvlT0_NS_24const_host_device_scalarIT4_EEPKS1_S6_PKT1_PKT2_PT3_PS1_PS3_21rocsparse_index_base_b
	.p2align	8
	.type	_ZN9rocsparseL22coomvn_segmented_loopsILj256ElaaiiEEvlT0_NS_24const_host_device_scalarIT4_EEPKS1_S6_PKT1_PKT2_PT3_PS1_PS3_21rocsparse_index_base_b,@function
_ZN9rocsparseL22coomvn_segmented_loopsILj256ElaaiiEEvlT0_NS_24const_host_device_scalarIT4_EEPKS1_S6_PKT1_PKT2_PT3_PS1_PS3_21rocsparse_index_base_b: ; @_ZN9rocsparseL22coomvn_segmented_loopsILj256ElaaiiEEvlT0_NS_24const_host_device_scalarIT4_EEPKS1_S6_PKT1_PKT2_PT3_PS1_PS3_21rocsparse_index_base_b
; %bb.0:
	s_load_dwordx2 s[34:35], s[4:5], 0x50
	s_load_dwordx2 s[0:1], s[4:5], 0x10
	s_waitcnt lgkmcnt(0)
	s_bitcmp0_b32 s35, 0
	s_cbranch_scc0 .LBB47_2
; %bb.1:
	s_load_dword s33, s[0:1], 0x0
	s_cbranch_execz .LBB47_3
	s_branch .LBB47_4
.LBB47_2:
                                        ; implicit-def: $sgpr33
.LBB47_3:
	s_waitcnt lgkmcnt(0)
	s_mov_b32 s33, s0
.LBB47_4:
	s_waitcnt lgkmcnt(0)
	s_cmp_eq_u32 s33, 0
	s_mov_b32 s7, 0
	s_cbranch_scc1 .LBB47_91
; %bb.5:
	s_load_dwordx4 s[28:31], s[4:5], 0x0
	s_load_dwordx8 s[36:43], s[4:5], 0x18
	v_mov_b32_e32 v1, -1
	v_mov_b32_e32 v2, -1
	v_mov_b32_e32 v15, 0
	s_waitcnt lgkmcnt(0)
	s_mul_i32 s1, s6, s31
	s_mul_hi_u32 s2, s6, s30
	s_mul_i32 s0, s6, s30
	s_add_i32 s1, s2, s1
	s_lshl_b64 s[0:1], s[0:1], 8
	v_or_b32_e32 v5, s0, v0
	v_mov_b32_e32 v6, s1
	v_cmp_gt_i64_e32 vcc, s[28:29], v[5:6]
	s_and_saveexec_b64 s[0:1], vcc
	s_cbranch_execz .LBB47_7
; %bb.6:
	v_lshlrev_b64 v[1:2], 3, v[5:6]
	v_mov_b32_e32 v4, s39
	v_add_co_u32_e32 v3, vcc, s38, v1
	v_addc_co_u32_e32 v4, vcc, v4, v2, vcc
	global_load_dwordx2 v[3:4], v[3:4], off glc slc
	v_mov_b32_e32 v8, s41
	v_add_co_u32_e32 v7, vcc, s40, v5
	v_addc_co_u32_e32 v8, vcc, v8, v6, vcc
	v_mov_b32_e32 v9, s37
	v_add_co_u32_e32 v1, vcc, s36, v1
	s_ashr_i32 s2, s34, 31
	v_addc_co_u32_e32 v2, vcc, v9, v2, vcc
	v_mov_b32_e32 v10, s43
	s_sub_u32 s3, 0, s34
	s_subb_u32 s2, 0, s2
	global_load_sbyte v7, v[7:8], off glc slc
	v_mov_b32_e32 v8, s2
	global_load_dwordx2 v[1:2], v[1:2], off glc slc
	s_waitcnt vmcnt(2)
	v_add_co_u32_e32 v3, vcc, s42, v3
	v_addc_co_u32_e32 v4, vcc, v10, v4, vcc
	v_add_co_u32_e32 v3, vcc, s3, v3
	v_addc_co_u32_e32 v4, vcc, v4, v8, vcc
	global_load_sbyte v3, v[3:4], off
	s_waitcnt vmcnt(1)
	v_subrev_co_u32_e32 v1, vcc, s34, v1
	v_subbrev_co_u32_e32 v2, vcc, 0, v2, vcc
	s_waitcnt vmcnt(0)
	v_mul_i32_i24_e32 v15, v3, v7
.LBB47_7:
	s_or_b64 exec, exec, s[0:1]
	v_lshlrev_b32_e32 v11, 3, v0
	v_lshlrev_b32_e32 v3, 2, v0
	v_or_b32_e32 v12, 0x800, v3
	v_cmp_eq_u32_e64 s[0:1], 0, v0
	v_cmp_ne_u32_e64 s[2:3], 0, v0
	v_add_u32_e32 v13, -8, v11
	ds_write_b64 v11, v[1:2]
	ds_write_b32 v3, v15 offset:2048
	s_waitcnt lgkmcnt(0)
	s_barrier
	s_and_saveexec_b64 s[8:9], s[2:3]
	s_cbranch_execz .LBB47_11
; %bb.8:
	ds_read_b64 v[3:4], v13
	s_waitcnt lgkmcnt(0)
	v_cmp_eq_u64_e32 vcc, v[1:2], v[3:4]
	s_and_saveexec_b64 s[10:11], vcc
	s_cbranch_execz .LBB47_10
; %bb.9:
	v_add_u32_e32 v3, -4, v12
	ds_read_b32 v3, v3
	s_waitcnt lgkmcnt(0)
	v_add_u32_e32 v15, v3, v15
.LBB47_10:
	s_or_b64 exec, exec, s[10:11]
.LBB47_11:
	s_or_b64 exec, exec, s[8:9]
	v_cmp_lt_u32_e64 s[22:23], 1, v0
	v_add_u32_e32 v14, -16, v11
	s_barrier
	ds_write_b32 v12, v15
	s_waitcnt lgkmcnt(0)
	s_barrier
	s_and_saveexec_b64 s[8:9], s[22:23]
	s_cbranch_execz .LBB47_15
; %bb.12:
	ds_read_b64 v[3:4], v14
	s_waitcnt lgkmcnt(0)
	v_cmp_eq_u64_e32 vcc, v[1:2], v[3:4]
	s_and_saveexec_b64 s[10:11], vcc
	s_cbranch_execz .LBB47_14
; %bb.13:
	v_add_u32_e32 v3, -8, v12
	ds_read_b32 v3, v3
	s_waitcnt lgkmcnt(0)
	v_add_u32_e32 v15, v3, v15
.LBB47_14:
	s_or_b64 exec, exec, s[10:11]
.LBB47_15:
	s_or_b64 exec, exec, s[8:9]
	v_cmp_lt_u32_e64 s[8:9], 3, v0
	v_subrev_u32_e32 v16, 32, v11
	s_barrier
	ds_write_b32 v12, v15
	s_waitcnt lgkmcnt(0)
	s_barrier
	s_and_saveexec_b64 s[10:11], s[8:9]
	s_cbranch_execz .LBB47_19
; %bb.16:
	ds_read_b64 v[3:4], v16
	s_waitcnt lgkmcnt(0)
	v_cmp_eq_u64_e32 vcc, v[1:2], v[3:4]
	s_and_saveexec_b64 s[12:13], vcc
	s_cbranch_execz .LBB47_18
; %bb.17:
	v_add_u32_e32 v3, -16, v12
	ds_read_b32 v3, v3
	s_waitcnt lgkmcnt(0)
	v_add_u32_e32 v15, v3, v15
.LBB47_18:
	s_or_b64 exec, exec, s[12:13]
.LBB47_19:
	s_or_b64 exec, exec, s[10:11]
	v_cmp_lt_u32_e64 s[10:11], 7, v0
	v_subrev_u32_e32 v17, 64, v11
	s_barrier
	ds_write_b32 v12, v15
	s_waitcnt lgkmcnt(0)
	s_barrier
	s_and_saveexec_b64 s[12:13], s[10:11]
	s_cbranch_execz .LBB47_23
; %bb.20:
	ds_read_b64 v[3:4], v17
	s_waitcnt lgkmcnt(0)
	v_cmp_eq_u64_e32 vcc, v[1:2], v[3:4]
	s_and_saveexec_b64 s[14:15], vcc
	s_cbranch_execz .LBB47_22
; %bb.21:
	v_subrev_u32_e32 v3, 32, v12
	ds_read_b32 v3, v3
	s_waitcnt lgkmcnt(0)
	v_add_u32_e32 v15, v3, v15
.LBB47_22:
	s_or_b64 exec, exec, s[14:15]
.LBB47_23:
	s_or_b64 exec, exec, s[12:13]
	v_cmp_lt_u32_e64 s[12:13], 15, v0
	s_barrier
	ds_write_b32 v12, v15
	s_waitcnt lgkmcnt(0)
	s_barrier
	s_and_saveexec_b64 s[14:15], s[12:13]
	s_cbranch_execz .LBB47_27
; %bb.24:
	v_add_u32_e32 v3, 0xffffff80, v11
	ds_read_b64 v[3:4], v3
	s_waitcnt lgkmcnt(0)
	v_cmp_eq_u64_e32 vcc, v[1:2], v[3:4]
	s_and_saveexec_b64 s[16:17], vcc
	s_cbranch_execz .LBB47_26
; %bb.25:
	v_subrev_u32_e32 v3, 64, v12
	ds_read_b32 v3, v3
	s_waitcnt lgkmcnt(0)
	v_add_u32_e32 v15, v3, v15
.LBB47_26:
	s_or_b64 exec, exec, s[16:17]
.LBB47_27:
	s_or_b64 exec, exec, s[14:15]
	v_cmp_lt_u32_e64 s[14:15], 31, v0
	s_barrier
	ds_write_b32 v12, v15
	s_waitcnt lgkmcnt(0)
	s_barrier
	s_and_saveexec_b64 s[16:17], s[14:15]
	s_cbranch_execz .LBB47_31
; %bb.28:
	v_add_u32_e32 v3, 0xffffff00, v11
	ds_read_b64 v[3:4], v3
	s_waitcnt lgkmcnt(0)
	v_cmp_eq_u64_e32 vcc, v[1:2], v[3:4]
	s_and_saveexec_b64 s[18:19], vcc
	s_cbranch_execz .LBB47_30
; %bb.29:
	v_add_u32_e32 v3, 0xffffff80, v12
	ds_read_b32 v3, v3
	s_waitcnt lgkmcnt(0)
	v_add_u32_e32 v15, v3, v15
.LBB47_30:
	s_or_b64 exec, exec, s[18:19]
.LBB47_31:
	s_or_b64 exec, exec, s[16:17]
	v_cmp_lt_u32_e64 s[16:17], 63, v0
	s_barrier
	ds_write_b32 v12, v15
	s_waitcnt lgkmcnt(0)
	s_barrier
	s_and_saveexec_b64 s[18:19], s[16:17]
	s_cbranch_execz .LBB47_35
; %bb.32:
	v_add_u32_e32 v3, 0xfffffe00, v11
	ds_read_b64 v[3:4], v3
	s_waitcnt lgkmcnt(0)
	v_cmp_eq_u64_e32 vcc, v[1:2], v[3:4]
	s_and_saveexec_b64 s[20:21], vcc
	s_cbranch_execz .LBB47_34
; %bb.33:
	v_add_u32_e32 v3, 0xffffff00, v12
	ds_read_b32 v3, v3
	s_waitcnt lgkmcnt(0)
	v_add_u32_e32 v15, v3, v15
.LBB47_34:
	s_or_b64 exec, exec, s[20:21]
.LBB47_35:
	s_or_b64 exec, exec, s[18:19]
	s_load_dwordx2 s[44:45], s[4:5], 0x38
	s_movk_i32 s18, 0x7f
	v_cmp_lt_u32_e64 s[18:19], s18, v0
	s_waitcnt lgkmcnt(0)
	s_barrier
	ds_write_b32 v12, v15
	s_waitcnt lgkmcnt(0)
	s_barrier
	s_and_saveexec_b64 s[20:21], s[18:19]
	s_cbranch_execz .LBB47_39
; %bb.36:
	v_add_u32_e32 v3, 0xfffffc00, v11
	ds_read_b64 v[3:4], v3
	s_waitcnt lgkmcnt(0)
	v_cmp_eq_u64_e32 vcc, v[1:2], v[3:4]
	s_and_saveexec_b64 s[24:25], vcc
	s_cbranch_execz .LBB47_38
; %bb.37:
	v_add_u32_e32 v3, 0xfffffe00, v12
	ds_read_b32 v3, v3
	s_waitcnt lgkmcnt(0)
	v_add_u32_e32 v15, v3, v15
.LBB47_38:
	s_or_b64 exec, exec, s[24:25]
.LBB47_39:
	s_or_b64 exec, exec, s[20:21]
	s_movk_i32 s20, 0xff
	v_cmp_gt_u32_e64 s[20:21], s20, v0
	s_barrier
	ds_write_b32 v12, v15
	s_waitcnt lgkmcnt(0)
	s_barrier
	s_and_saveexec_b64 s[26:27], s[20:21]
	s_cbranch_execz .LBB47_42
; %bb.40:
	ds_read_b64 v[3:4], v11 offset:8
	v_cmp_lt_i64_e64 s[24:25], -1, v[1:2]
	s_waitcnt lgkmcnt(0)
	v_cmp_ne_u64_e32 vcc, v[1:2], v[3:4]
	s_and_b64 s[24:25], s[24:25], vcc
	s_and_b64 exec, exec, s[24:25]
	s_cbranch_execz .LBB47_42
; %bb.41:
	v_lshlrev_b64 v[3:4], 2, v[1:2]
	v_mov_b32_e32 v7, s45
	v_add_co_u32_e32 v3, vcc, s44, v3
	v_addc_co_u32_e32 v4, vcc, v7, v4, vcc
	global_load_dword v7, v[3:4], off
	s_waitcnt vmcnt(0)
	v_mad_u64_u32 v[7:8], s[24:25], v15, s33, v[7:8]
	global_store_dword v[3:4], v7, off
.LBB47_42:
	s_or_b64 exec, exec, s[26:27]
	s_load_dwordx4 s[24:27], s[4:5], 0x40
	v_cmp_lt_i64_e64 s[4:5], s[30:31], 2
	s_and_b64 vcc, exec, s[4:5]
	s_cbranch_vccnz .LBB47_89
; %bb.43:
	s_add_u32 s46, s30, -1
	s_addc_u32 s47, s31, -1
	s_ashr_i32 s4, s34, 31
	s_sub_u32 s5, 0, s34
	s_subb_u32 s4, 0, s4
	s_add_u32 s35, s42, s5
	s_addc_u32 s42, s43, s4
	s_mul_i32 s4, s31, s6
	s_mul_hi_u32 s5, s30, s6
	s_add_i32 s5, s5, s4
	s_mul_i32 s4, s30, s6
	s_lshl_b64 s[4:5], s[4:5], 11
	v_lshl_or_b32 v1, v0, 3, s4
	s_movk_i32 s4, 0x800
	v_mov_b32_e32 v2, s5
	v_add_co_u32_e32 v1, vcc, s4, v1
	v_addc_co_u32_e32 v2, vcc, 0, v2, vcc
	v_mov_b32_e32 v4, s39
	v_add_co_u32_e32 v3, vcc, s38, v1
	v_addc_co_u32_e32 v4, vcc, v4, v2, vcc
	s_movk_i32 s4, 0x100
	v_add_co_u32_e32 v5, vcc, s4, v5
	v_addc_co_u32_e32 v6, vcc, 0, v6, vcc
	v_mov_b32_e32 v8, s37
	v_add_co_u32_e32 v7, vcc, s36, v1
	s_mov_b64 s[48:49], 0
	v_add_u32_e32 v18, -16, v12
	v_subrev_u32_e32 v19, 32, v12
	v_add_u32_e32 v20, 0xffffff80, v11
	v_subrev_u32_e32 v21, 64, v12
	v_add_u32_e32 v22, 0xffffff00, v11
	v_add_u32_e32 v23, 0xffffff80, v12
	;; [unrolled: 1-line block ×3, first 2 shown]
	v_addc_co_u32_e32 v8, vcc, v8, v2, vcc
	v_add_u32_e32 v25, 0xffffff00, v12
	v_add_u32_e32 v26, 0xfffffc00, v11
	;; [unrolled: 1-line block ×3, first 2 shown]
	v_mov_b32_e32 v28, 0
	s_branch .LBB47_45
.LBB47_44:                              ;   in Loop: Header=BB47_45 Depth=1
	s_or_b64 exec, exec, s[30:31]
	v_add_co_u32_e32 v3, vcc, 0x800, v3
	v_addc_co_u32_e32 v4, vcc, 0, v4, vcc
	s_add_u32 s48, s48, 1
	v_add_co_u32_e32 v5, vcc, 0x100, v5
	s_addc_u32 s49, s49, 0
	v_mov_b32_e32 v9, s48
	v_addc_co_u32_e32 v6, vcc, 0, v6, vcc
	v_mov_b32_e32 v10, s49
	v_add_co_u32_e32 v7, vcc, 0x800, v7
	v_cmp_le_u64_e64 s[4:5], s[46:47], v[9:10]
	v_addc_co_u32_e32 v8, vcc, 0, v8, vcc
	s_and_b64 vcc, exec, s[4:5]
	s_cbranch_vccnz .LBB47_89
.LBB47_45:                              ; =>This Inner Loop Header: Depth=1
	v_cmp_gt_i64_e32 vcc, s[28:29], v[5:6]
	v_mov_b32_e32 v1, -1
	v_mov_b32_e32 v2, -1
	v_mov_b32_e32 v15, 0
	s_and_saveexec_b64 s[4:5], vcc
	s_cbranch_execz .LBB47_47
; %bb.46:                               ;   in Loop: Header=BB47_45 Depth=1
	global_load_dwordx2 v[1:2], v[3:4], off glc slc
	global_load_dwordx2 v[9:10], v[7:8], off glc slc
	v_mov_b32_e32 v15, s41
	v_add_co_u32_e32 v29, vcc, s40, v5
	v_addc_co_u32_e32 v30, vcc, v15, v6, vcc
	v_mov_b32_e32 v31, s42
	global_load_sbyte v15, v[29:30], off glc slc
	s_waitcnt vmcnt(2)
	v_add_co_u32_e32 v1, vcc, s35, v1
	v_addc_co_u32_e32 v2, vcc, v31, v2, vcc
	global_load_sbyte v29, v[1:2], off
	s_waitcnt vmcnt(2)
	v_subrev_co_u32_e32 v1, vcc, s34, v9
	v_subbrev_co_u32_e32 v2, vcc, 0, v10, vcc
	s_waitcnt vmcnt(0)
	v_mul_i32_i24_e32 v15, v29, v15
.LBB47_47:                              ;   in Loop: Header=BB47_45 Depth=1
	s_or_b64 exec, exec, s[4:5]
	s_and_saveexec_b64 s[4:5], s[0:1]
	s_cbranch_execz .LBB47_54
; %bb.48:                               ;   in Loop: Header=BB47_45 Depth=1
	ds_read_b64 v[9:10], v28 offset:2040
	s_waitcnt lgkmcnt(0)
	v_cmp_ne_u64_e32 vcc, v[1:2], v[9:10]
	s_and_saveexec_b64 s[30:31], vcc
	s_xor_b64 s[30:31], exec, s[30:31]
	s_cbranch_execz .LBB47_51
; %bb.49:                               ;   in Loop: Header=BB47_45 Depth=1
	v_cmp_gt_i64_e32 vcc, 0, v[9:10]
	s_cbranch_vccnz .LBB47_51
; %bb.50:                               ;   in Loop: Header=BB47_45 Depth=1
	v_lshlrev_b64 v[9:10], 2, v[9:10]
	v_mov_b32_e32 v29, s45
	v_add_co_u32_e32 v9, vcc, s44, v9
	v_addc_co_u32_e32 v10, vcc, v29, v10, vcc
	global_load_dword v29, v[9:10], off
	ds_read_b32 v30, v28 offset:3068
	s_waitcnt lgkmcnt(0)
	v_mul_lo_u32 v30, v30, s33
	s_waitcnt vmcnt(0)
	v_add_u32_e32 v29, v30, v29
	global_store_dword v[9:10], v29, off
.LBB47_51:                              ;   in Loop: Header=BB47_45 Depth=1
	s_andn2_saveexec_b64 s[30:31], s[30:31]
	s_cbranch_execz .LBB47_53
; %bb.52:                               ;   in Loop: Header=BB47_45 Depth=1
	ds_read_b32 v9, v28 offset:3068
	s_waitcnt lgkmcnt(0)
	v_add_u32_e32 v15, v9, v15
.LBB47_53:                              ;   in Loop: Header=BB47_45 Depth=1
	s_or_b64 exec, exec, s[30:31]
.LBB47_54:                              ;   in Loop: Header=BB47_45 Depth=1
	s_or_b64 exec, exec, s[4:5]
	s_waitcnt vmcnt(0) lgkmcnt(0)
	s_barrier
	ds_write_b64 v11, v[1:2]
	ds_write_b32 v12, v15
	s_waitcnt lgkmcnt(0)
	s_barrier
	s_and_saveexec_b64 s[4:5], s[2:3]
	s_cbranch_execz .LBB47_58
; %bb.55:                               ;   in Loop: Header=BB47_45 Depth=1
	ds_read_b64 v[9:10], v13
	s_waitcnt lgkmcnt(0)
	v_cmp_eq_u64_e32 vcc, v[1:2], v[9:10]
	s_and_saveexec_b64 s[30:31], vcc
	s_cbranch_execz .LBB47_57
; %bb.56:                               ;   in Loop: Header=BB47_45 Depth=1
	v_add_u32_e32 v9, -4, v12
	ds_read_b32 v9, v9
	s_waitcnt lgkmcnt(0)
	v_add_u32_e32 v15, v9, v15
.LBB47_57:                              ;   in Loop: Header=BB47_45 Depth=1
	s_or_b64 exec, exec, s[30:31]
.LBB47_58:                              ;   in Loop: Header=BB47_45 Depth=1
	s_or_b64 exec, exec, s[4:5]
	s_barrier
	ds_write_b32 v12, v15
	s_waitcnt lgkmcnt(0)
	s_barrier
	s_and_saveexec_b64 s[4:5], s[22:23]
	s_cbranch_execz .LBB47_62
; %bb.59:                               ;   in Loop: Header=BB47_45 Depth=1
	ds_read_b64 v[9:10], v14
	s_waitcnt lgkmcnt(0)
	v_cmp_eq_u64_e32 vcc, v[1:2], v[9:10]
	s_and_saveexec_b64 s[30:31], vcc
	s_cbranch_execz .LBB47_61
; %bb.60:                               ;   in Loop: Header=BB47_45 Depth=1
	v_add_u32_e32 v9, -8, v12
	ds_read_b32 v9, v9
	s_waitcnt lgkmcnt(0)
	v_add_u32_e32 v15, v9, v15
.LBB47_61:                              ;   in Loop: Header=BB47_45 Depth=1
	s_or_b64 exec, exec, s[30:31]
.LBB47_62:                              ;   in Loop: Header=BB47_45 Depth=1
	s_or_b64 exec, exec, s[4:5]
	s_barrier
	ds_write_b32 v12, v15
	s_waitcnt lgkmcnt(0)
	s_barrier
	s_and_saveexec_b64 s[4:5], s[8:9]
	s_cbranch_execz .LBB47_66
; %bb.63:                               ;   in Loop: Header=BB47_45 Depth=1
	ds_read_b64 v[9:10], v16
	s_waitcnt lgkmcnt(0)
	v_cmp_eq_u64_e32 vcc, v[1:2], v[9:10]
	s_and_saveexec_b64 s[30:31], vcc
	s_cbranch_execz .LBB47_65
; %bb.64:                               ;   in Loop: Header=BB47_45 Depth=1
	ds_read_b32 v9, v18
	s_waitcnt lgkmcnt(0)
	v_add_u32_e32 v15, v9, v15
.LBB47_65:                              ;   in Loop: Header=BB47_45 Depth=1
	s_or_b64 exec, exec, s[30:31]
.LBB47_66:                              ;   in Loop: Header=BB47_45 Depth=1
	s_or_b64 exec, exec, s[4:5]
	s_barrier
	ds_write_b32 v12, v15
	s_waitcnt lgkmcnt(0)
	s_barrier
	s_and_saveexec_b64 s[4:5], s[10:11]
	s_cbranch_execz .LBB47_70
; %bb.67:                               ;   in Loop: Header=BB47_45 Depth=1
	ds_read_b64 v[9:10], v17
	s_waitcnt lgkmcnt(0)
	v_cmp_eq_u64_e32 vcc, v[1:2], v[9:10]
	s_and_saveexec_b64 s[30:31], vcc
	s_cbranch_execz .LBB47_69
; %bb.68:                               ;   in Loop: Header=BB47_45 Depth=1
	ds_read_b32 v9, v19
	s_waitcnt lgkmcnt(0)
	v_add_u32_e32 v15, v9, v15
.LBB47_69:                              ;   in Loop: Header=BB47_45 Depth=1
	s_or_b64 exec, exec, s[30:31]
.LBB47_70:                              ;   in Loop: Header=BB47_45 Depth=1
	;; [unrolled: 20-line block ×6, first 2 shown]
	s_or_b64 exec, exec, s[4:5]
	s_barrier
	ds_write_b32 v12, v15
	s_waitcnt lgkmcnt(0)
	s_barrier
	s_and_saveexec_b64 s[30:31], s[20:21]
	s_cbranch_execz .LBB47_44
; %bb.87:                               ;   in Loop: Header=BB47_45 Depth=1
	ds_read_b64 v[9:10], v11 offset:8
	v_cmp_lt_i64_e64 s[4:5], -1, v[1:2]
	s_waitcnt lgkmcnt(0)
	v_cmp_ne_u64_e32 vcc, v[1:2], v[9:10]
	s_and_b64 s[4:5], s[4:5], vcc
	s_and_b64 exec, exec, s[4:5]
	s_cbranch_execz .LBB47_44
; %bb.88:                               ;   in Loop: Header=BB47_45 Depth=1
	v_lshlrev_b64 v[9:10], 2, v[1:2]
	v_mov_b32_e32 v29, s45
	v_add_co_u32_e32 v9, vcc, s44, v9
	v_addc_co_u32_e32 v10, vcc, v29, v10, vcc
	global_load_dword v29, v[9:10], off
	s_waitcnt vmcnt(0)
	v_mad_u64_u32 v[29:30], s[4:5], v15, s33, v[29:30]
	global_store_dword v[9:10], v29, off
	s_branch .LBB47_44
.LBB47_89:
	s_movk_i32 s0, 0xff
	v_cmp_eq_u32_e32 vcc, s0, v0
	s_and_saveexec_b64 s[0:1], vcc
	s_cbranch_execz .LBB47_91
; %bb.90:
	s_lshl_b64 s[0:1], s[6:7], 3
	s_waitcnt lgkmcnt(0)
	s_add_u32 s0, s24, s0
	v_mul_lo_u32 v3, v15, s33
	s_addc_u32 s1, s25, s1
	s_lshl_b64 s[2:3], s[6:7], 2
	v_mov_b32_e32 v0, 0
	s_add_u32 s2, s26, s2
	s_addc_u32 s3, s27, s3
	global_store_dwordx2 v0, v[1:2], s[0:1] glc slc
	global_store_dword v0, v3, s[2:3] glc slc
.LBB47_91:
	s_endpgm
	.section	.rodata,"a",@progbits
	.p2align	6, 0x0
	.amdhsa_kernel _ZN9rocsparseL22coomvn_segmented_loopsILj256ElaaiiEEvlT0_NS_24const_host_device_scalarIT4_EEPKS1_S6_PKT1_PKT2_PT3_PS1_PS3_21rocsparse_index_base_b
		.amdhsa_group_segment_fixed_size 3072
		.amdhsa_private_segment_fixed_size 0
		.amdhsa_kernarg_size 88
		.amdhsa_user_sgpr_count 6
		.amdhsa_user_sgpr_private_segment_buffer 1
		.amdhsa_user_sgpr_dispatch_ptr 0
		.amdhsa_user_sgpr_queue_ptr 0
		.amdhsa_user_sgpr_kernarg_segment_ptr 1
		.amdhsa_user_sgpr_dispatch_id 0
		.amdhsa_user_sgpr_flat_scratch_init 0
		.amdhsa_user_sgpr_private_segment_size 0
		.amdhsa_uses_dynamic_stack 0
		.amdhsa_system_sgpr_private_segment_wavefront_offset 0
		.amdhsa_system_sgpr_workgroup_id_x 1
		.amdhsa_system_sgpr_workgroup_id_y 0
		.amdhsa_system_sgpr_workgroup_id_z 0
		.amdhsa_system_sgpr_workgroup_info 0
		.amdhsa_system_vgpr_workitem_id 0
		.amdhsa_next_free_vgpr 32
		.amdhsa_next_free_sgpr 50
		.amdhsa_reserve_vcc 1
		.amdhsa_reserve_flat_scratch 0
		.amdhsa_float_round_mode_32 0
		.amdhsa_float_round_mode_16_64 0
		.amdhsa_float_denorm_mode_32 3
		.amdhsa_float_denorm_mode_16_64 3
		.amdhsa_dx10_clamp 1
		.amdhsa_ieee_mode 1
		.amdhsa_fp16_overflow 0
		.amdhsa_exception_fp_ieee_invalid_op 0
		.amdhsa_exception_fp_denorm_src 0
		.amdhsa_exception_fp_ieee_div_zero 0
		.amdhsa_exception_fp_ieee_overflow 0
		.amdhsa_exception_fp_ieee_underflow 0
		.amdhsa_exception_fp_ieee_inexact 0
		.amdhsa_exception_int_div_zero 0
	.end_amdhsa_kernel
	.section	.text._ZN9rocsparseL22coomvn_segmented_loopsILj256ElaaiiEEvlT0_NS_24const_host_device_scalarIT4_EEPKS1_S6_PKT1_PKT2_PT3_PS1_PS3_21rocsparse_index_base_b,"axG",@progbits,_ZN9rocsparseL22coomvn_segmented_loopsILj256ElaaiiEEvlT0_NS_24const_host_device_scalarIT4_EEPKS1_S6_PKT1_PKT2_PT3_PS1_PS3_21rocsparse_index_base_b,comdat
.Lfunc_end47:
	.size	_ZN9rocsparseL22coomvn_segmented_loopsILj256ElaaiiEEvlT0_NS_24const_host_device_scalarIT4_EEPKS1_S6_PKT1_PKT2_PT3_PS1_PS3_21rocsparse_index_base_b, .Lfunc_end47-_ZN9rocsparseL22coomvn_segmented_loopsILj256ElaaiiEEvlT0_NS_24const_host_device_scalarIT4_EEPKS1_S6_PKT1_PKT2_PT3_PS1_PS3_21rocsparse_index_base_b
                                        ; -- End function
	.set _ZN9rocsparseL22coomvn_segmented_loopsILj256ElaaiiEEvlT0_NS_24const_host_device_scalarIT4_EEPKS1_S6_PKT1_PKT2_PT3_PS1_PS3_21rocsparse_index_base_b.num_vgpr, 32
	.set _ZN9rocsparseL22coomvn_segmented_loopsILj256ElaaiiEEvlT0_NS_24const_host_device_scalarIT4_EEPKS1_S6_PKT1_PKT2_PT3_PS1_PS3_21rocsparse_index_base_b.num_agpr, 0
	.set _ZN9rocsparseL22coomvn_segmented_loopsILj256ElaaiiEEvlT0_NS_24const_host_device_scalarIT4_EEPKS1_S6_PKT1_PKT2_PT3_PS1_PS3_21rocsparse_index_base_b.numbered_sgpr, 50
	.set _ZN9rocsparseL22coomvn_segmented_loopsILj256ElaaiiEEvlT0_NS_24const_host_device_scalarIT4_EEPKS1_S6_PKT1_PKT2_PT3_PS1_PS3_21rocsparse_index_base_b.num_named_barrier, 0
	.set _ZN9rocsparseL22coomvn_segmented_loopsILj256ElaaiiEEvlT0_NS_24const_host_device_scalarIT4_EEPKS1_S6_PKT1_PKT2_PT3_PS1_PS3_21rocsparse_index_base_b.private_seg_size, 0
	.set _ZN9rocsparseL22coomvn_segmented_loopsILj256ElaaiiEEvlT0_NS_24const_host_device_scalarIT4_EEPKS1_S6_PKT1_PKT2_PT3_PS1_PS3_21rocsparse_index_base_b.uses_vcc, 1
	.set _ZN9rocsparseL22coomvn_segmented_loopsILj256ElaaiiEEvlT0_NS_24const_host_device_scalarIT4_EEPKS1_S6_PKT1_PKT2_PT3_PS1_PS3_21rocsparse_index_base_b.uses_flat_scratch, 0
	.set _ZN9rocsparseL22coomvn_segmented_loopsILj256ElaaiiEEvlT0_NS_24const_host_device_scalarIT4_EEPKS1_S6_PKT1_PKT2_PT3_PS1_PS3_21rocsparse_index_base_b.has_dyn_sized_stack, 0
	.set _ZN9rocsparseL22coomvn_segmented_loopsILj256ElaaiiEEvlT0_NS_24const_host_device_scalarIT4_EEPKS1_S6_PKT1_PKT2_PT3_PS1_PS3_21rocsparse_index_base_b.has_recursion, 0
	.set _ZN9rocsparseL22coomvn_segmented_loopsILj256ElaaiiEEvlT0_NS_24const_host_device_scalarIT4_EEPKS1_S6_PKT1_PKT2_PT3_PS1_PS3_21rocsparse_index_base_b.has_indirect_call, 0
	.section	.AMDGPU.csdata,"",@progbits
; Kernel info:
; codeLenInByte = 2568
; TotalNumSgprs: 54
; NumVgprs: 32
; ScratchSize: 0
; MemoryBound: 1
; FloatMode: 240
; IeeeMode: 1
; LDSByteSize: 3072 bytes/workgroup (compile time only)
; SGPRBlocks: 6
; VGPRBlocks: 7
; NumSGPRsForWavesPerEU: 54
; NumVGPRsForWavesPerEU: 32
; Occupancy: 8
; WaveLimiterHint : 1
; COMPUTE_PGM_RSRC2:SCRATCH_EN: 0
; COMPUTE_PGM_RSRC2:USER_SGPR: 6
; COMPUTE_PGM_RSRC2:TRAP_HANDLER: 0
; COMPUTE_PGM_RSRC2:TGID_X_EN: 1
; COMPUTE_PGM_RSRC2:TGID_Y_EN: 0
; COMPUTE_PGM_RSRC2:TGID_Z_EN: 0
; COMPUTE_PGM_RSRC2:TIDIG_COMP_CNT: 0
	.section	.text._ZN9rocsparseL29coomvn_segmented_loops_reduceILj256EliiEEvT0_NS_24const_host_device_scalarIT2_EEPKS1_PKS3_PT1_b,"axG",@progbits,_ZN9rocsparseL29coomvn_segmented_loops_reduceILj256EliiEEvT0_NS_24const_host_device_scalarIT2_EEPKS1_PKS3_PT1_b,comdat
	.globl	_ZN9rocsparseL29coomvn_segmented_loops_reduceILj256EliiEEvT0_NS_24const_host_device_scalarIT2_EEPKS1_PKS3_PT1_b ; -- Begin function _ZN9rocsparseL29coomvn_segmented_loops_reduceILj256EliiEEvT0_NS_24const_host_device_scalarIT2_EEPKS1_PKS3_PT1_b
	.p2align	8
	.type	_ZN9rocsparseL29coomvn_segmented_loops_reduceILj256EliiEEvT0_NS_24const_host_device_scalarIT2_EEPKS1_PKS3_PT1_b,@function
_ZN9rocsparseL29coomvn_segmented_loops_reduceILj256EliiEEvT0_NS_24const_host_device_scalarIT2_EEPKS1_PKS3_PT1_b: ; @_ZN9rocsparseL29coomvn_segmented_loops_reduceILj256EliiEEvT0_NS_24const_host_device_scalarIT2_EEPKS1_PKS3_PT1_b
; %bb.0:
	s_load_dword s0, s[4:5], 0x28
	s_load_dwordx4 s[8:11], s[4:5], 0x0
	s_waitcnt lgkmcnt(0)
	s_bitcmp0_b32 s0, 0
	s_cbranch_scc0 .LBB48_2
; %bb.1:
	s_load_dword s2, s[10:11], 0x0
	s_cbranch_execz .LBB48_3
	s_branch .LBB48_4
.LBB48_2:
                                        ; implicit-def: $sgpr2
.LBB48_3:
	s_waitcnt lgkmcnt(0)
	s_mov_b32 s2, s10
.LBB48_4:
	s_waitcnt lgkmcnt(0)
	s_cmp_eq_u32 s2, 0
	s_cbranch_scc1 .LBB48_46
; %bb.5:
	v_cmp_lt_i64_e64 s[0:1], s[8:9], 1
	s_and_b64 vcc, exec, s[0:1]
	s_cbranch_vccnz .LBB48_46
; %bb.6:
	v_subrev_co_u32_e32 v2, vcc, 1, v0
	v_mov_b32_e32 v3, 0x800
	s_xor_b64 s[10:11], vcc, -1
	v_lshl_add_u32 v11, v2, 2, v3
	v_subrev_co_u32_e32 v2, vcc, 2, v0
	s_xor_b64 s[16:17], vcc, -1
	v_lshl_add_u32 v12, v2, 2, v3
	v_subrev_co_u32_e32 v2, vcc, 4, v0
	;; [unrolled: 3-line block ×3, first 2 shown]
	s_load_dwordx4 s[12:15], s[4:5], 0x10
	s_load_dwordx2 s[6:7], s[4:5], 0x20
	s_xor_b64 s[20:21], vcc, -1
	v_lshl_add_u32 v14, v2, 2, v3
	v_subrev_co_u32_e32 v2, vcc, 16, v0
	s_xor_b64 s[22:23], vcc, -1
	v_lshl_add_u32 v15, v2, 2, v3
	v_subrev_co_u32_e32 v2, vcc, 32, v0
	v_lshl_add_u32 v16, v2, 2, v3
	v_subrev_co_u32_e64 v2, s[0:1], 64, v0
	s_movk_i32 s2, 0x80
	v_lshlrev_b32_e32 v1, 2, v0
	v_lshl_add_u32 v17, v2, 2, v3
	v_subrev_co_u32_e64 v2, s[2:3], s2, v0
	v_or_b32_e32 v10, 0x800, v1
	v_lshl_add_u32 v18, v2, 2, v3
	s_waitcnt lgkmcnt(0)
	v_mov_b32_e32 v2, s15
	v_add_co_u32_e64 v1, s[4:5], s14, v1
	v_lshlrev_b32_e32 v9, 3, v0
	v_addc_co_u32_e64 v2, s[4:5], 0, v2, s[4:5]
	v_mov_b32_e32 v4, s13
	v_add_co_u32_e64 v3, s[4:5], s12, v9
	v_addc_co_u32_e64 v4, s[4:5], 0, v4, s[4:5]
	s_xor_b64 s[12:13], s[0:1], -1
	s_movk_i32 s0, 0xff
	v_add_u32_e32 v19, 0xffffff80, v9
	s_xor_b64 s[4:5], vcc, -1
	s_xor_b64 s[14:15], s[2:3], -1
	v_cmp_gt_u32_e64 s[0:1], s0, v0
	s_mov_b64 s[24:25], 0
	v_add_u32_e32 v20, 0xffffff00, v9
	v_add_u32_e32 v21, 0xfffffe00, v9
	;; [unrolled: 1-line block ×3, first 2 shown]
	v_add_u32_e32 v23, -8, v9
	v_add_u32_e32 v24, -16, v9
	v_subrev_u32_e32 v25, 32, v9
	v_subrev_u32_e32 v26, 64, v9
	s_branch .LBB48_8
.LBB48_7:                               ;   in Loop: Header=BB48_8 Depth=1
	s_or_b64 exec, exec, s[2:3]
	s_add_u32 s24, s24, 0x100
	v_add_co_u32_e32 v1, vcc, 0x400, v1
	v_mov_b32_e32 v5, s8
	s_addc_u32 s25, s25, 0
	v_addc_co_u32_e32 v2, vcc, 0, v2, vcc
	v_mov_b32_e32 v6, s9
	v_add_co_u32_e32 v3, vcc, 0x800, v3
	v_cmp_lt_i64_e64 s[2:3], s[24:25], v[5:6]
	v_addc_co_u32_e32 v4, vcc, 0, v4, vcc
	s_and_b64 vcc, exec, s[2:3]
	s_waitcnt vmcnt(0)
	s_barrier
	s_cbranch_vccz .LBB48_46
.LBB48_8:                               ; =>This Inner Loop Header: Depth=1
	v_mov_b32_e32 v6, s25
	v_add_co_u32_e32 v5, vcc, s24, v0
	v_addc_co_u32_e32 v6, vcc, 0, v6, vcc
	v_cmp_gt_i64_e32 vcc, s[8:9], v[5:6]
	v_mov_b32_e32 v5, -1
	v_mov_b32_e32 v6, -1
	v_mov_b32_e32 v7, 0
	s_and_saveexec_b64 s[2:3], vcc
	s_cbranch_execz .LBB48_10
; %bb.9:                                ;   in Loop: Header=BB48_8 Depth=1
	global_load_dwordx2 v[5:6], v[3:4], off
	global_load_dword v7, v[1:2], off
.LBB48_10:                              ;   in Loop: Header=BB48_8 Depth=1
	s_or_b64 exec, exec, s[2:3]
	s_waitcnt vmcnt(1)
	ds_write_b64 v9, v[5:6]
	s_waitcnt vmcnt(0)
	ds_write_b32 v10, v7
	v_mov_b32_e32 v5, 0
	v_mov_b32_e32 v6, 0
	s_waitcnt lgkmcnt(0)
	s_barrier
	s_and_saveexec_b64 s[2:3], s[10:11]
	s_cbranch_execz .LBB48_14
; %bb.11:                               ;   in Loop: Header=BB48_8 Depth=1
	ds_read2_b64 v[27:30], v23 offset1:1
	v_mov_b32_e32 v6, 0
	s_waitcnt lgkmcnt(0)
	v_cmp_eq_u64_e32 vcc, v[29:30], v[27:28]
	s_and_saveexec_b64 s[26:27], vcc
; %bb.12:                               ;   in Loop: Header=BB48_8 Depth=1
	ds_read_b32 v6, v11
; %bb.13:                               ;   in Loop: Header=BB48_8 Depth=1
	s_or_b64 exec, exec, s[26:27]
.LBB48_14:                              ;   in Loop: Header=BB48_8 Depth=1
	s_or_b64 exec, exec, s[2:3]
	s_waitcnt lgkmcnt(0)
	s_barrier
	ds_read_b32 v7, v10
	s_waitcnt lgkmcnt(0)
	v_add_u32_e32 v6, v7, v6
	ds_write_b32 v10, v6
	s_waitcnt lgkmcnt(0)
	s_barrier
	s_and_saveexec_b64 s[2:3], s[16:17]
	s_cbranch_execz .LBB48_18
; %bb.15:                               ;   in Loop: Header=BB48_8 Depth=1
	ds_read_b64 v[5:6], v9
	ds_read_b64 v[7:8], v24
	s_waitcnt lgkmcnt(0)
	v_cmp_eq_u64_e32 vcc, v[5:6], v[7:8]
	v_mov_b32_e32 v5, 0
	s_and_saveexec_b64 s[26:27], vcc
; %bb.16:                               ;   in Loop: Header=BB48_8 Depth=1
	ds_read_b32 v5, v12
; %bb.17:                               ;   in Loop: Header=BB48_8 Depth=1
	s_or_b64 exec, exec, s[26:27]
.LBB48_18:                              ;   in Loop: Header=BB48_8 Depth=1
	s_or_b64 exec, exec, s[2:3]
	s_waitcnt lgkmcnt(0)
	s_barrier
	ds_read_b32 v6, v10
	s_waitcnt lgkmcnt(0)
	v_add_u32_e32 v5, v6, v5
	ds_write_b32 v10, v5
	v_mov_b32_e32 v5, 0
	v_mov_b32_e32 v6, 0
	s_waitcnt lgkmcnt(0)
	s_barrier
	s_and_saveexec_b64 s[2:3], s[18:19]
	s_cbranch_execz .LBB48_22
; %bb.19:                               ;   in Loop: Header=BB48_8 Depth=1
	ds_read_b64 v[6:7], v9
	ds_read_b64 v[27:28], v25
	s_waitcnt lgkmcnt(0)
	v_cmp_eq_u64_e32 vcc, v[6:7], v[27:28]
	v_mov_b32_e32 v6, 0
	s_and_saveexec_b64 s[26:27], vcc
; %bb.20:                               ;   in Loop: Header=BB48_8 Depth=1
	ds_read_b32 v6, v13
; %bb.21:                               ;   in Loop: Header=BB48_8 Depth=1
	s_or_b64 exec, exec, s[26:27]
.LBB48_22:                              ;   in Loop: Header=BB48_8 Depth=1
	s_or_b64 exec, exec, s[2:3]
	s_waitcnt lgkmcnt(0)
	s_barrier
	ds_read_b32 v7, v10
	s_waitcnt lgkmcnt(0)
	v_add_u32_e32 v6, v7, v6
	ds_write_b32 v10, v6
	s_waitcnt lgkmcnt(0)
	s_barrier
	s_and_saveexec_b64 s[2:3], s[20:21]
	s_cbranch_execz .LBB48_26
; %bb.23:                               ;   in Loop: Header=BB48_8 Depth=1
	ds_read_b64 v[5:6], v9
	ds_read_b64 v[7:8], v26
	s_waitcnt lgkmcnt(0)
	v_cmp_eq_u64_e32 vcc, v[5:6], v[7:8]
	v_mov_b32_e32 v5, 0
	s_and_saveexec_b64 s[26:27], vcc
; %bb.24:                               ;   in Loop: Header=BB48_8 Depth=1
	ds_read_b32 v5, v14
; %bb.25:                               ;   in Loop: Header=BB48_8 Depth=1
	s_or_b64 exec, exec, s[26:27]
.LBB48_26:                              ;   in Loop: Header=BB48_8 Depth=1
	s_or_b64 exec, exec, s[2:3]
	s_waitcnt lgkmcnt(0)
	s_barrier
	ds_read_b32 v6, v10
	s_waitcnt lgkmcnt(0)
	v_add_u32_e32 v5, v6, v5
	ds_write_b32 v10, v5
	v_mov_b32_e32 v5, 0
	v_mov_b32_e32 v6, 0
	s_waitcnt lgkmcnt(0)
	s_barrier
	s_and_saveexec_b64 s[2:3], s[22:23]
	s_cbranch_execz .LBB48_30
; %bb.27:                               ;   in Loop: Header=BB48_8 Depth=1
	ds_read_b64 v[6:7], v9
	ds_read_b64 v[27:28], v19
	s_waitcnt lgkmcnt(0)
	v_cmp_eq_u64_e32 vcc, v[6:7], v[27:28]
	v_mov_b32_e32 v6, 0
	s_and_saveexec_b64 s[26:27], vcc
; %bb.28:                               ;   in Loop: Header=BB48_8 Depth=1
	ds_read_b32 v6, v15
; %bb.29:                               ;   in Loop: Header=BB48_8 Depth=1
	s_or_b64 exec, exec, s[26:27]
.LBB48_30:                              ;   in Loop: Header=BB48_8 Depth=1
	;; [unrolled: 48-line block ×3, first 2 shown]
	s_or_b64 exec, exec, s[2:3]
	s_waitcnt lgkmcnt(0)
	s_barrier
	ds_read_b32 v7, v10
	s_waitcnt lgkmcnt(0)
	v_add_u32_e32 v6, v7, v6
	ds_write_b32 v10, v6
	s_waitcnt lgkmcnt(0)
	s_barrier
	s_and_saveexec_b64 s[2:3], s[14:15]
	s_cbranch_execz .LBB48_42
; %bb.39:                               ;   in Loop: Header=BB48_8 Depth=1
	ds_read_b64 v[5:6], v9
	ds_read_b64 v[7:8], v22
	s_waitcnt lgkmcnt(0)
	v_cmp_eq_u64_e32 vcc, v[5:6], v[7:8]
	v_mov_b32_e32 v5, 0
	s_and_saveexec_b64 s[26:27], vcc
; %bb.40:                               ;   in Loop: Header=BB48_8 Depth=1
	ds_read_b32 v5, v18
; %bb.41:                               ;   in Loop: Header=BB48_8 Depth=1
	s_or_b64 exec, exec, s[26:27]
.LBB48_42:                              ;   in Loop: Header=BB48_8 Depth=1
	s_or_b64 exec, exec, s[2:3]
	s_waitcnt lgkmcnt(0)
	s_barrier
	ds_read_b32 v6, v10
	v_mov_b32_e32 v7, -1
	v_mov_b32_e32 v8, -1
	s_waitcnt lgkmcnt(0)
	v_add_u32_e32 v5, v6, v5
	ds_write_b32 v10, v5
	s_waitcnt lgkmcnt(0)
	s_barrier
	ds_read_b64 v[5:6], v9
	s_and_saveexec_b64 s[2:3], s[0:1]
; %bb.43:                               ;   in Loop: Header=BB48_8 Depth=1
	ds_read_b64 v[7:8], v9 offset:8
; %bb.44:                               ;   in Loop: Header=BB48_8 Depth=1
	s_or_b64 exec, exec, s[2:3]
	s_waitcnt lgkmcnt(0)
	v_cmp_ne_u64_e32 vcc, v[5:6], v[7:8]
	v_cmp_lt_i64_e64 s[2:3], -1, v[5:6]
	s_and_b64 s[26:27], s[2:3], vcc
	s_and_saveexec_b64 s[2:3], s[26:27]
	s_cbranch_execz .LBB48_7
; %bb.45:                               ;   in Loop: Header=BB48_8 Depth=1
	v_lshlrev_b64 v[5:6], 2, v[5:6]
	v_mov_b32_e32 v7, s7
	v_add_co_u32_e32 v5, vcc, s6, v5
	v_addc_co_u32_e32 v6, vcc, v7, v6, vcc
	global_load_dword v7, v[5:6], off
	ds_read_b32 v8, v10
	s_waitcnt vmcnt(0) lgkmcnt(0)
	v_add_u32_e32 v7, v8, v7
	global_store_dword v[5:6], v7, off
	s_branch .LBB48_7
.LBB48_46:
	s_endpgm
	.section	.rodata,"a",@progbits
	.p2align	6, 0x0
	.amdhsa_kernel _ZN9rocsparseL29coomvn_segmented_loops_reduceILj256EliiEEvT0_NS_24const_host_device_scalarIT2_EEPKS1_PKS3_PT1_b
		.amdhsa_group_segment_fixed_size 3072
		.amdhsa_private_segment_fixed_size 0
		.amdhsa_kernarg_size 44
		.amdhsa_user_sgpr_count 6
		.amdhsa_user_sgpr_private_segment_buffer 1
		.amdhsa_user_sgpr_dispatch_ptr 0
		.amdhsa_user_sgpr_queue_ptr 0
		.amdhsa_user_sgpr_kernarg_segment_ptr 1
		.amdhsa_user_sgpr_dispatch_id 0
		.amdhsa_user_sgpr_flat_scratch_init 0
		.amdhsa_user_sgpr_private_segment_size 0
		.amdhsa_uses_dynamic_stack 0
		.amdhsa_system_sgpr_private_segment_wavefront_offset 0
		.amdhsa_system_sgpr_workgroup_id_x 1
		.amdhsa_system_sgpr_workgroup_id_y 0
		.amdhsa_system_sgpr_workgroup_id_z 0
		.amdhsa_system_sgpr_workgroup_info 0
		.amdhsa_system_vgpr_workitem_id 0
		.amdhsa_next_free_vgpr 31
		.amdhsa_next_free_sgpr 28
		.amdhsa_reserve_vcc 1
		.amdhsa_reserve_flat_scratch 0
		.amdhsa_float_round_mode_32 0
		.amdhsa_float_round_mode_16_64 0
		.amdhsa_float_denorm_mode_32 3
		.amdhsa_float_denorm_mode_16_64 3
		.amdhsa_dx10_clamp 1
		.amdhsa_ieee_mode 1
		.amdhsa_fp16_overflow 0
		.amdhsa_exception_fp_ieee_invalid_op 0
		.amdhsa_exception_fp_denorm_src 0
		.amdhsa_exception_fp_ieee_div_zero 0
		.amdhsa_exception_fp_ieee_overflow 0
		.amdhsa_exception_fp_ieee_underflow 0
		.amdhsa_exception_fp_ieee_inexact 0
		.amdhsa_exception_int_div_zero 0
	.end_amdhsa_kernel
	.section	.text._ZN9rocsparseL29coomvn_segmented_loops_reduceILj256EliiEEvT0_NS_24const_host_device_scalarIT2_EEPKS1_PKS3_PT1_b,"axG",@progbits,_ZN9rocsparseL29coomvn_segmented_loops_reduceILj256EliiEEvT0_NS_24const_host_device_scalarIT2_EEPKS1_PKS3_PT1_b,comdat
.Lfunc_end48:
	.size	_ZN9rocsparseL29coomvn_segmented_loops_reduceILj256EliiEEvT0_NS_24const_host_device_scalarIT2_EEPKS1_PKS3_PT1_b, .Lfunc_end48-_ZN9rocsparseL29coomvn_segmented_loops_reduceILj256EliiEEvT0_NS_24const_host_device_scalarIT2_EEPKS1_PKS3_PT1_b
                                        ; -- End function
	.set _ZN9rocsparseL29coomvn_segmented_loops_reduceILj256EliiEEvT0_NS_24const_host_device_scalarIT2_EEPKS1_PKS3_PT1_b.num_vgpr, 31
	.set _ZN9rocsparseL29coomvn_segmented_loops_reduceILj256EliiEEvT0_NS_24const_host_device_scalarIT2_EEPKS1_PKS3_PT1_b.num_agpr, 0
	.set _ZN9rocsparseL29coomvn_segmented_loops_reduceILj256EliiEEvT0_NS_24const_host_device_scalarIT2_EEPKS1_PKS3_PT1_b.numbered_sgpr, 28
	.set _ZN9rocsparseL29coomvn_segmented_loops_reduceILj256EliiEEvT0_NS_24const_host_device_scalarIT2_EEPKS1_PKS3_PT1_b.num_named_barrier, 0
	.set _ZN9rocsparseL29coomvn_segmented_loops_reduceILj256EliiEEvT0_NS_24const_host_device_scalarIT2_EEPKS1_PKS3_PT1_b.private_seg_size, 0
	.set _ZN9rocsparseL29coomvn_segmented_loops_reduceILj256EliiEEvT0_NS_24const_host_device_scalarIT2_EEPKS1_PKS3_PT1_b.uses_vcc, 1
	.set _ZN9rocsparseL29coomvn_segmented_loops_reduceILj256EliiEEvT0_NS_24const_host_device_scalarIT2_EEPKS1_PKS3_PT1_b.uses_flat_scratch, 0
	.set _ZN9rocsparseL29coomvn_segmented_loops_reduceILj256EliiEEvT0_NS_24const_host_device_scalarIT2_EEPKS1_PKS3_PT1_b.has_dyn_sized_stack, 0
	.set _ZN9rocsparseL29coomvn_segmented_loops_reduceILj256EliiEEvT0_NS_24const_host_device_scalarIT2_EEPKS1_PKS3_PT1_b.has_recursion, 0
	.set _ZN9rocsparseL29coomvn_segmented_loops_reduceILj256EliiEEvT0_NS_24const_host_device_scalarIT2_EEPKS1_PKS3_PT1_b.has_indirect_call, 0
	.section	.AMDGPU.csdata,"",@progbits
; Kernel info:
; codeLenInByte = 1444
; TotalNumSgprs: 32
; NumVgprs: 31
; ScratchSize: 0
; MemoryBound: 0
; FloatMode: 240
; IeeeMode: 1
; LDSByteSize: 3072 bytes/workgroup (compile time only)
; SGPRBlocks: 3
; VGPRBlocks: 7
; NumSGPRsForWavesPerEU: 32
; NumVGPRsForWavesPerEU: 31
; Occupancy: 8
; WaveLimiterHint : 0
; COMPUTE_PGM_RSRC2:SCRATCH_EN: 0
; COMPUTE_PGM_RSRC2:USER_SGPR: 6
; COMPUTE_PGM_RSRC2:TRAP_HANDLER: 0
; COMPUTE_PGM_RSRC2:TGID_X_EN: 1
; COMPUTE_PGM_RSRC2:TGID_Y_EN: 0
; COMPUTE_PGM_RSRC2:TGID_Z_EN: 0
; COMPUTE_PGM_RSRC2:TIDIG_COMP_CNT: 0
	.section	.text._ZN9rocsparseL13coomvt_kernelILj1024ElaaiiEEv20rocsparse_operation_lNS_24const_host_device_scalarIT4_EEPKT0_S7_PKT1_PKT2_PT3_21rocsparse_index_base_b,"axG",@progbits,_ZN9rocsparseL13coomvt_kernelILj1024ElaaiiEEv20rocsparse_operation_lNS_24const_host_device_scalarIT4_EEPKT0_S7_PKT1_PKT2_PT3_21rocsparse_index_base_b,comdat
	.globl	_ZN9rocsparseL13coomvt_kernelILj1024ElaaiiEEv20rocsparse_operation_lNS_24const_host_device_scalarIT4_EEPKT0_S7_PKT1_PKT2_PT3_21rocsparse_index_base_b ; -- Begin function _ZN9rocsparseL13coomvt_kernelILj1024ElaaiiEEv20rocsparse_operation_lNS_24const_host_device_scalarIT4_EEPKT0_S7_PKT1_PKT2_PT3_21rocsparse_index_base_b
	.p2align	8
	.type	_ZN9rocsparseL13coomvt_kernelILj1024ElaaiiEEv20rocsparse_operation_lNS_24const_host_device_scalarIT4_EEPKT0_S7_PKT1_PKT2_PT3_21rocsparse_index_base_b,@function
_ZN9rocsparseL13coomvt_kernelILj1024ElaaiiEEv20rocsparse_operation_lNS_24const_host_device_scalarIT4_EEPKT0_S7_PKT1_PKT2_PT3_21rocsparse_index_base_b: ; @_ZN9rocsparseL13coomvt_kernelILj1024ElaaiiEEv20rocsparse_operation_lNS_24const_host_device_scalarIT4_EEPKT0_S7_PKT1_PKT2_PT3_21rocsparse_index_base_b
; %bb.0:
	s_load_dwordx2 s[16:17], s[4:5], 0x40
	s_load_dwordx4 s[0:3], s[4:5], 0x8
	s_waitcnt lgkmcnt(0)
	s_bitcmp0_b32 s17, 0
	s_cbranch_scc0 .LBB49_2
; %bb.1:
	s_load_dword s3, s[2:3], 0x0
	s_cbranch_execz .LBB49_3
	s_branch .LBB49_4
.LBB49_2:
                                        ; implicit-def: $sgpr3
.LBB49_3:
	s_waitcnt lgkmcnt(0)
	s_mov_b32 s3, s2
.LBB49_4:
	s_waitcnt lgkmcnt(0)
	s_cmp_eq_u32 s3, 0
	s_cbranch_scc1 .LBB49_7
; %bb.5:
	s_load_dword s2, s[4:5], 0x54
	v_mov_b32_e32 v1, 0
	s_waitcnt lgkmcnt(0)
	s_and_b32 s2, s2, 0xffff
	s_mul_i32 s6, s6, s2
	v_add_u32_e32 v0, s6, v0
	v_cmp_gt_i64_e32 vcc, s[0:1], v[0:1]
	s_and_saveexec_b64 s[0:1], vcc
	s_cbranch_execz .LBB49_7
; %bb.6:
	s_load_dwordx8 s[8:15], s[4:5], 0x18
	v_lshlrev_b64 v[1:2], 3, v[0:1]
	s_load_dwordx2 s[0:1], s[4:5], 0x38
	s_waitcnt lgkmcnt(0)
	v_mov_b32_e32 v4, s9
	v_add_co_u32_e32 v3, vcc, s8, v1
	v_addc_co_u32_e32 v4, vcc, v4, v2, vcc
	global_load_dwordx2 v[3:4], v[3:4], off
	v_mov_b32_e32 v5, s11
	v_add_co_u32_e32 v1, vcc, s10, v1
	v_addc_co_u32_e32 v2, vcc, v5, v2, vcc
	v_mov_b32_e32 v6, s13
	v_add_co_u32_e32 v5, vcc, s12, v0
	v_addc_co_u32_e32 v6, vcc, 0, v6, vcc
	global_load_dwordx2 v[7:8], v[1:2], off
	global_load_sbyte v10, v[5:6], off
	v_mov_b32_e32 v9, s15
	s_waitcnt vmcnt(2)
	v_subrev_co_u32_e32 v0, vcc, s16, v3
	v_subbrev_co_u32_e32 v1, vcc, 0, v4, vcc
	v_add_co_u32_e32 v0, vcc, s14, v0
	v_addc_co_u32_e32 v1, vcc, v9, v1, vcc
	global_load_sbyte v2, v[0:1], off
	v_mov_b32_e32 v3, s1
	s_waitcnt vmcnt(2)
	v_subrev_co_u32_e32 v0, vcc, s16, v7
	s_waitcnt vmcnt(1)
	v_mul_lo_u32 v4, s3, v10
	v_subbrev_co_u32_e32 v1, vcc, 0, v8, vcc
	v_lshlrev_b64 v[0:1], 2, v[0:1]
	v_add_co_u32_e32 v0, vcc, s0, v0
	v_addc_co_u32_e32 v1, vcc, v3, v1, vcc
	s_waitcnt vmcnt(0)
	v_mul_lo_u32 v2, v4, v2
	global_atomic_add v[0:1], v2, off
.LBB49_7:
	s_endpgm
	.section	.rodata,"a",@progbits
	.p2align	6, 0x0
	.amdhsa_kernel _ZN9rocsparseL13coomvt_kernelILj1024ElaaiiEEv20rocsparse_operation_lNS_24const_host_device_scalarIT4_EEPKT0_S7_PKT1_PKT2_PT3_21rocsparse_index_base_b
		.amdhsa_group_segment_fixed_size 0
		.amdhsa_private_segment_fixed_size 0
		.amdhsa_kernarg_size 328
		.amdhsa_user_sgpr_count 6
		.amdhsa_user_sgpr_private_segment_buffer 1
		.amdhsa_user_sgpr_dispatch_ptr 0
		.amdhsa_user_sgpr_queue_ptr 0
		.amdhsa_user_sgpr_kernarg_segment_ptr 1
		.amdhsa_user_sgpr_dispatch_id 0
		.amdhsa_user_sgpr_flat_scratch_init 0
		.amdhsa_user_sgpr_private_segment_size 0
		.amdhsa_uses_dynamic_stack 0
		.amdhsa_system_sgpr_private_segment_wavefront_offset 0
		.amdhsa_system_sgpr_workgroup_id_x 1
		.amdhsa_system_sgpr_workgroup_id_y 0
		.amdhsa_system_sgpr_workgroup_id_z 0
		.amdhsa_system_sgpr_workgroup_info 0
		.amdhsa_system_vgpr_workitem_id 0
		.amdhsa_next_free_vgpr 11
		.amdhsa_next_free_sgpr 18
		.amdhsa_reserve_vcc 1
		.amdhsa_reserve_flat_scratch 0
		.amdhsa_float_round_mode_32 0
		.amdhsa_float_round_mode_16_64 0
		.amdhsa_float_denorm_mode_32 3
		.amdhsa_float_denorm_mode_16_64 3
		.amdhsa_dx10_clamp 1
		.amdhsa_ieee_mode 1
		.amdhsa_fp16_overflow 0
		.amdhsa_exception_fp_ieee_invalid_op 0
		.amdhsa_exception_fp_denorm_src 0
		.amdhsa_exception_fp_ieee_div_zero 0
		.amdhsa_exception_fp_ieee_overflow 0
		.amdhsa_exception_fp_ieee_underflow 0
		.amdhsa_exception_fp_ieee_inexact 0
		.amdhsa_exception_int_div_zero 0
	.end_amdhsa_kernel
	.section	.text._ZN9rocsparseL13coomvt_kernelILj1024ElaaiiEEv20rocsparse_operation_lNS_24const_host_device_scalarIT4_EEPKT0_S7_PKT1_PKT2_PT3_21rocsparse_index_base_b,"axG",@progbits,_ZN9rocsparseL13coomvt_kernelILj1024ElaaiiEEv20rocsparse_operation_lNS_24const_host_device_scalarIT4_EEPKT0_S7_PKT1_PKT2_PT3_21rocsparse_index_base_b,comdat
.Lfunc_end49:
	.size	_ZN9rocsparseL13coomvt_kernelILj1024ElaaiiEEv20rocsparse_operation_lNS_24const_host_device_scalarIT4_EEPKT0_S7_PKT1_PKT2_PT3_21rocsparse_index_base_b, .Lfunc_end49-_ZN9rocsparseL13coomvt_kernelILj1024ElaaiiEEv20rocsparse_operation_lNS_24const_host_device_scalarIT4_EEPKT0_S7_PKT1_PKT2_PT3_21rocsparse_index_base_b
                                        ; -- End function
	.set _ZN9rocsparseL13coomvt_kernelILj1024ElaaiiEEv20rocsparse_operation_lNS_24const_host_device_scalarIT4_EEPKT0_S7_PKT1_PKT2_PT3_21rocsparse_index_base_b.num_vgpr, 11
	.set _ZN9rocsparseL13coomvt_kernelILj1024ElaaiiEEv20rocsparse_operation_lNS_24const_host_device_scalarIT4_EEPKT0_S7_PKT1_PKT2_PT3_21rocsparse_index_base_b.num_agpr, 0
	.set _ZN9rocsparseL13coomvt_kernelILj1024ElaaiiEEv20rocsparse_operation_lNS_24const_host_device_scalarIT4_EEPKT0_S7_PKT1_PKT2_PT3_21rocsparse_index_base_b.numbered_sgpr, 18
	.set _ZN9rocsparseL13coomvt_kernelILj1024ElaaiiEEv20rocsparse_operation_lNS_24const_host_device_scalarIT4_EEPKT0_S7_PKT1_PKT2_PT3_21rocsparse_index_base_b.num_named_barrier, 0
	.set _ZN9rocsparseL13coomvt_kernelILj1024ElaaiiEEv20rocsparse_operation_lNS_24const_host_device_scalarIT4_EEPKT0_S7_PKT1_PKT2_PT3_21rocsparse_index_base_b.private_seg_size, 0
	.set _ZN9rocsparseL13coomvt_kernelILj1024ElaaiiEEv20rocsparse_operation_lNS_24const_host_device_scalarIT4_EEPKT0_S7_PKT1_PKT2_PT3_21rocsparse_index_base_b.uses_vcc, 1
	.set _ZN9rocsparseL13coomvt_kernelILj1024ElaaiiEEv20rocsparse_operation_lNS_24const_host_device_scalarIT4_EEPKT0_S7_PKT1_PKT2_PT3_21rocsparse_index_base_b.uses_flat_scratch, 0
	.set _ZN9rocsparseL13coomvt_kernelILj1024ElaaiiEEv20rocsparse_operation_lNS_24const_host_device_scalarIT4_EEPKT0_S7_PKT1_PKT2_PT3_21rocsparse_index_base_b.has_dyn_sized_stack, 0
	.set _ZN9rocsparseL13coomvt_kernelILj1024ElaaiiEEv20rocsparse_operation_lNS_24const_host_device_scalarIT4_EEPKT0_S7_PKT1_PKT2_PT3_21rocsparse_index_base_b.has_recursion, 0
	.set _ZN9rocsparseL13coomvt_kernelILj1024ElaaiiEEv20rocsparse_operation_lNS_24const_host_device_scalarIT4_EEPKT0_S7_PKT1_PKT2_PT3_21rocsparse_index_base_b.has_indirect_call, 0
	.section	.AMDGPU.csdata,"",@progbits
; Kernel info:
; codeLenInByte = 296
; TotalNumSgprs: 22
; NumVgprs: 11
; ScratchSize: 0
; MemoryBound: 0
; FloatMode: 240
; IeeeMode: 1
; LDSByteSize: 0 bytes/workgroup (compile time only)
; SGPRBlocks: 2
; VGPRBlocks: 2
; NumSGPRsForWavesPerEU: 22
; NumVGPRsForWavesPerEU: 11
; Occupancy: 10
; WaveLimiterHint : 1
; COMPUTE_PGM_RSRC2:SCRATCH_EN: 0
; COMPUTE_PGM_RSRC2:USER_SGPR: 6
; COMPUTE_PGM_RSRC2:TRAP_HANDLER: 0
; COMPUTE_PGM_RSRC2:TGID_X_EN: 1
; COMPUTE_PGM_RSRC2:TGID_Y_EN: 0
; COMPUTE_PGM_RSRC2:TGID_Z_EN: 0
; COMPUTE_PGM_RSRC2:TIDIG_COMP_CNT: 0
	.section	.text._ZN9rocsparseL19coomvn_atomic_loopsILj256ELj1ElaaiiEEvlNS_24const_host_device_scalarIT5_EEPKT1_S6_PKT2_PKT3_PT4_21rocsparse_index_base_b,"axG",@progbits,_ZN9rocsparseL19coomvn_atomic_loopsILj256ELj1ElaaiiEEvlNS_24const_host_device_scalarIT5_EEPKT1_S6_PKT2_PKT3_PT4_21rocsparse_index_base_b,comdat
	.globl	_ZN9rocsparseL19coomvn_atomic_loopsILj256ELj1ElaaiiEEvlNS_24const_host_device_scalarIT5_EEPKT1_S6_PKT2_PKT3_PT4_21rocsparse_index_base_b ; -- Begin function _ZN9rocsparseL19coomvn_atomic_loopsILj256ELj1ElaaiiEEvlNS_24const_host_device_scalarIT5_EEPKT1_S6_PKT2_PKT3_PT4_21rocsparse_index_base_b
	.p2align	8
	.type	_ZN9rocsparseL19coomvn_atomic_loopsILj256ELj1ElaaiiEEvlNS_24const_host_device_scalarIT5_EEPKT1_S6_PKT2_PKT3_PT4_21rocsparse_index_base_b,@function
_ZN9rocsparseL19coomvn_atomic_loopsILj256ELj1ElaaiiEEvlNS_24const_host_device_scalarIT5_EEPKT1_S6_PKT2_PKT3_PT4_21rocsparse_index_base_b: ; @_ZN9rocsparseL19coomvn_atomic_loopsILj256ELj1ElaaiiEEvlNS_24const_host_device_scalarIT5_EEPKT1_S6_PKT2_PKT3_PT4_21rocsparse_index_base_b
; %bb.0:
	s_load_dwordx2 s[16:17], s[4:5], 0x38
	s_load_dwordx4 s[0:3], s[4:5], 0x0
	s_waitcnt lgkmcnt(0)
	s_bitcmp0_b32 s17, 0
	s_cbranch_scc0 .LBB50_2
; %bb.1:
	s_load_dword s7, s[2:3], 0x0
	s_cbranch_execz .LBB50_3
	s_branch .LBB50_4
.LBB50_2:
                                        ; implicit-def: $sgpr7
.LBB50_3:
	s_waitcnt lgkmcnt(0)
	s_mov_b32 s7, s2
.LBB50_4:
	s_waitcnt lgkmcnt(0)
	s_cmp_eq_u32 s7, 0
	s_cbranch_scc1 .LBB50_44
; %bb.5:
	v_lshl_or_b32 v1, s6, 8, v0
	v_mov_b32_e32 v2, 0
	v_cmp_gt_i64_e32 vcc, s[0:1], v[1:2]
	v_mov_b32_e32 v3, -1
	v_mov_b32_e32 v4, -1
	s_and_saveexec_b64 s[0:1], vcc
	s_cbranch_execz .LBB50_7
; %bb.6:
	s_load_dwordx8 s[8:15], s[4:5], 0x10
	v_lshlrev_b64 v[2:3], 3, v[1:2]
	s_waitcnt lgkmcnt(0)
	v_mov_b32_e32 v5, s11
	v_add_co_u32_e32 v4, vcc, s10, v2
	v_addc_co_u32_e32 v5, vcc, v5, v3, vcc
	global_load_dwordx2 v[4:5], v[4:5], off glc slc
	v_mov_b32_e32 v6, s9
	v_add_co_u32_e32 v2, vcc, s8, v2
	v_addc_co_u32_e32 v3, vcc, v6, v3, vcc
	v_mov_b32_e32 v7, s13
	v_add_co_u32_e32 v6, vcc, s12, v1
	v_addc_co_u32_e32 v7, vcc, 0, v7, vcc
	global_load_dwordx2 v[8:9], v[2:3], off glc slc
	global_load_sbyte v11, v[6:7], off glc slc
	v_mov_b32_e32 v10, s15
	s_waitcnt vmcnt(2)
	v_subrev_co_u32_e32 v1, vcc, s16, v4
	v_subbrev_co_u32_e32 v2, vcc, 0, v5, vcc
	v_add_co_u32_e32 v1, vcc, s14, v1
	v_addc_co_u32_e32 v2, vcc, v10, v2, vcc
	global_load_sbyte v1, v[1:2], off
	s_waitcnt vmcnt(2)
	v_subrev_co_u32_e32 v3, vcc, s16, v8
	v_subbrev_co_u32_e32 v4, vcc, 0, v9, vcc
	s_waitcnt vmcnt(0)
	v_mul_i32_i24_e32 v2, v1, v11
.LBB50_7:
	s_or_b64 exec, exec, s[0:1]
	v_lshlrev_b32_e32 v6, 2, v0
	v_lshlrev_b32_e32 v1, 3, v0
	v_or_b32_e32 v5, 0x800, v6
	v_cmp_ne_u32_e32 vcc, 0, v0
	ds_write_b64 v1, v[3:4]
	ds_write_b32 v6, v2 offset:2048
	s_waitcnt lgkmcnt(0)
	s_barrier
	s_and_saveexec_b64 s[0:1], vcc
	s_cbranch_execz .LBB50_11
; %bb.8:
	v_add_u32_e32 v6, -8, v1
	ds_read_b64 v[6:7], v6
	s_waitcnt lgkmcnt(0)
	v_cmp_eq_u64_e32 vcc, v[3:4], v[6:7]
	s_and_saveexec_b64 s[2:3], vcc
	s_cbranch_execz .LBB50_10
; %bb.9:
	v_add_u32_e32 v6, -4, v5
	ds_read_b32 v6, v6
	s_waitcnt lgkmcnt(0)
	v_add_u32_e32 v2, v6, v2
.LBB50_10:
	s_or_b64 exec, exec, s[2:3]
.LBB50_11:
	s_or_b64 exec, exec, s[0:1]
	v_cmp_lt_u32_e32 vcc, 1, v0
	s_barrier
	ds_write_b32 v5, v2
	s_waitcnt lgkmcnt(0)
	s_barrier
	s_and_saveexec_b64 s[0:1], vcc
	s_cbranch_execz .LBB50_15
; %bb.12:
	v_add_u32_e32 v6, -16, v1
	ds_read_b64 v[6:7], v6
	s_waitcnt lgkmcnt(0)
	v_cmp_eq_u64_e32 vcc, v[3:4], v[6:7]
	s_and_saveexec_b64 s[2:3], vcc
	s_cbranch_execz .LBB50_14
; %bb.13:
	v_add_u32_e32 v6, -8, v5
	ds_read_b32 v6, v6
	s_waitcnt lgkmcnt(0)
	v_add_u32_e32 v2, v6, v2
.LBB50_14:
	s_or_b64 exec, exec, s[2:3]
.LBB50_15:
	s_or_b64 exec, exec, s[0:1]
	v_cmp_lt_u32_e32 vcc, 3, v0
	s_barrier
	ds_write_b32 v5, v2
	s_waitcnt lgkmcnt(0)
	s_barrier
	s_and_saveexec_b64 s[0:1], vcc
	s_cbranch_execz .LBB50_19
; %bb.16:
	v_subrev_u32_e32 v6, 32, v1
	ds_read_b64 v[6:7], v6
	s_waitcnt lgkmcnt(0)
	v_cmp_eq_u64_e32 vcc, v[3:4], v[6:7]
	s_and_saveexec_b64 s[2:3], vcc
	s_cbranch_execz .LBB50_18
; %bb.17:
	v_add_u32_e32 v6, -16, v5
	ds_read_b32 v6, v6
	s_waitcnt lgkmcnt(0)
	v_add_u32_e32 v2, v6, v2
.LBB50_18:
	s_or_b64 exec, exec, s[2:3]
.LBB50_19:
	s_or_b64 exec, exec, s[0:1]
	v_cmp_lt_u32_e32 vcc, 7, v0
	s_barrier
	ds_write_b32 v5, v2
	s_waitcnt lgkmcnt(0)
	s_barrier
	s_and_saveexec_b64 s[0:1], vcc
	s_cbranch_execz .LBB50_23
; %bb.20:
	v_subrev_u32_e32 v6, 64, v1
	ds_read_b64 v[6:7], v6
	s_waitcnt lgkmcnt(0)
	v_cmp_eq_u64_e32 vcc, v[3:4], v[6:7]
	s_and_saveexec_b64 s[2:3], vcc
	s_cbranch_execz .LBB50_22
; %bb.21:
	v_subrev_u32_e32 v6, 32, v5
	ds_read_b32 v6, v6
	s_waitcnt lgkmcnt(0)
	v_add_u32_e32 v2, v6, v2
.LBB50_22:
	s_or_b64 exec, exec, s[2:3]
.LBB50_23:
	s_or_b64 exec, exec, s[0:1]
	v_cmp_lt_u32_e32 vcc, 15, v0
	s_barrier
	ds_write_b32 v5, v2
	s_waitcnt lgkmcnt(0)
	s_barrier
	s_and_saveexec_b64 s[0:1], vcc
	s_cbranch_execz .LBB50_27
; %bb.24:
	v_add_u32_e32 v6, 0xffffff80, v1
	ds_read_b64 v[6:7], v6
	s_waitcnt lgkmcnt(0)
	v_cmp_eq_u64_e32 vcc, v[3:4], v[6:7]
	s_and_saveexec_b64 s[2:3], vcc
	s_cbranch_execz .LBB50_26
; %bb.25:
	v_subrev_u32_e32 v6, 64, v5
	ds_read_b32 v6, v6
	s_waitcnt lgkmcnt(0)
	v_add_u32_e32 v2, v6, v2
.LBB50_26:
	s_or_b64 exec, exec, s[2:3]
.LBB50_27:
	s_or_b64 exec, exec, s[0:1]
	v_cmp_lt_u32_e32 vcc, 31, v0
	s_barrier
	ds_write_b32 v5, v2
	s_waitcnt lgkmcnt(0)
	s_barrier
	s_and_saveexec_b64 s[0:1], vcc
	s_cbranch_execz .LBB50_31
; %bb.28:
	v_add_u32_e32 v6, 0xffffff00, v1
	ds_read_b64 v[6:7], v6
	s_waitcnt lgkmcnt(0)
	v_cmp_eq_u64_e32 vcc, v[3:4], v[6:7]
	s_and_saveexec_b64 s[2:3], vcc
	s_cbranch_execz .LBB50_30
; %bb.29:
	v_add_u32_e32 v6, 0xffffff80, v5
	ds_read_b32 v6, v6
	s_waitcnt lgkmcnt(0)
	v_add_u32_e32 v2, v6, v2
.LBB50_30:
	s_or_b64 exec, exec, s[2:3]
.LBB50_31:
	s_or_b64 exec, exec, s[0:1]
	v_cmp_lt_u32_e32 vcc, 63, v0
	s_barrier
	ds_write_b32 v5, v2
	s_waitcnt lgkmcnt(0)
	s_barrier
	s_and_saveexec_b64 s[0:1], vcc
	s_cbranch_execz .LBB50_35
; %bb.32:
	v_add_u32_e32 v6, 0xfffffe00, v1
	ds_read_b64 v[6:7], v6
	s_waitcnt lgkmcnt(0)
	v_cmp_eq_u64_e32 vcc, v[3:4], v[6:7]
	s_and_saveexec_b64 s[2:3], vcc
	s_cbranch_execz .LBB50_34
; %bb.33:
	v_add_u32_e32 v6, 0xffffff00, v5
	ds_read_b32 v6, v6
	s_waitcnt lgkmcnt(0)
	v_add_u32_e32 v2, v6, v2
.LBB50_34:
	s_or_b64 exec, exec, s[2:3]
.LBB50_35:
	s_or_b64 exec, exec, s[0:1]
	s_load_dwordx2 s[2:3], s[4:5], 0x30
	s_movk_i32 s0, 0x7f
	v_cmp_lt_u32_e32 vcc, s0, v0
	s_waitcnt lgkmcnt(0)
	s_barrier
	ds_write_b32 v5, v2
	s_waitcnt lgkmcnt(0)
	s_barrier
	s_and_saveexec_b64 s[0:1], vcc
	s_cbranch_execz .LBB50_39
; %bb.36:
	v_add_u32_e32 v6, 0xfffffc00, v1
	ds_read_b64 v[6:7], v6
	s_waitcnt lgkmcnt(0)
	v_cmp_eq_u64_e32 vcc, v[3:4], v[6:7]
	s_and_saveexec_b64 s[4:5], vcc
	s_cbranch_execz .LBB50_38
; %bb.37:
	v_add_u32_e32 v6, 0xfffffe00, v5
	ds_read_b32 v6, v6
	s_waitcnt lgkmcnt(0)
	v_add_u32_e32 v2, v6, v2
.LBB50_38:
	s_or_b64 exec, exec, s[4:5]
.LBB50_39:
	s_or_b64 exec, exec, s[0:1]
	s_movk_i32 s6, 0xff
	v_cmp_gt_u32_e32 vcc, s6, v0
	s_barrier
	ds_write_b32 v5, v2
	s_waitcnt lgkmcnt(0)
	s_barrier
	s_and_saveexec_b64 s[4:5], vcc
	s_cbranch_execz .LBB50_42
; %bb.40:
	ds_read_b64 v[5:6], v1 offset:8
	v_cmp_lt_i64_e64 s[0:1], -1, v[3:4]
	s_waitcnt lgkmcnt(0)
	v_cmp_ne_u64_e32 vcc, v[3:4], v[5:6]
	s_and_b64 s[0:1], s[0:1], vcc
	s_and_b64 exec, exec, s[0:1]
	s_cbranch_execz .LBB50_42
; %bb.41:
	v_lshlrev_b64 v[5:6], 2, v[3:4]
	v_mul_lo_u32 v7, v2, s7
	v_mov_b32_e32 v1, s3
	v_add_co_u32_e32 v5, vcc, s2, v5
	v_addc_co_u32_e32 v6, vcc, v1, v6, vcc
	global_atomic_add v[5:6], v7, off
.LBB50_42:
	s_or_b64 exec, exec, s[4:5]
	v_cmp_lt_i64_e32 vcc, -1, v[3:4]
	v_cmp_eq_u32_e64 s[0:1], s6, v0
	s_and_b64 s[0:1], s[0:1], vcc
	s_and_saveexec_b64 s[4:5], s[0:1]
	s_cbranch_execz .LBB50_44
; %bb.43:
	v_lshlrev_b64 v[0:1], 2, v[3:4]
	v_mul_lo_u32 v2, v2, s7
	v_mov_b32_e32 v3, s3
	v_add_co_u32_e32 v0, vcc, s2, v0
	v_addc_co_u32_e32 v1, vcc, v3, v1, vcc
	global_atomic_add v[0:1], v2, off
.LBB50_44:
	s_endpgm
	.section	.rodata,"a",@progbits
	.p2align	6, 0x0
	.amdhsa_kernel _ZN9rocsparseL19coomvn_atomic_loopsILj256ELj1ElaaiiEEvlNS_24const_host_device_scalarIT5_EEPKT1_S6_PKT2_PKT3_PT4_21rocsparse_index_base_b
		.amdhsa_group_segment_fixed_size 3072
		.amdhsa_private_segment_fixed_size 0
		.amdhsa_kernarg_size 64
		.amdhsa_user_sgpr_count 6
		.amdhsa_user_sgpr_private_segment_buffer 1
		.amdhsa_user_sgpr_dispatch_ptr 0
		.amdhsa_user_sgpr_queue_ptr 0
		.amdhsa_user_sgpr_kernarg_segment_ptr 1
		.amdhsa_user_sgpr_dispatch_id 0
		.amdhsa_user_sgpr_flat_scratch_init 0
		.amdhsa_user_sgpr_private_segment_size 0
		.amdhsa_uses_dynamic_stack 0
		.amdhsa_system_sgpr_private_segment_wavefront_offset 0
		.amdhsa_system_sgpr_workgroup_id_x 1
		.amdhsa_system_sgpr_workgroup_id_y 0
		.amdhsa_system_sgpr_workgroup_id_z 0
		.amdhsa_system_sgpr_workgroup_info 0
		.amdhsa_system_vgpr_workitem_id 0
		.amdhsa_next_free_vgpr 12
		.amdhsa_next_free_sgpr 18
		.amdhsa_reserve_vcc 1
		.amdhsa_reserve_flat_scratch 0
		.amdhsa_float_round_mode_32 0
		.amdhsa_float_round_mode_16_64 0
		.amdhsa_float_denorm_mode_32 3
		.amdhsa_float_denorm_mode_16_64 3
		.amdhsa_dx10_clamp 1
		.amdhsa_ieee_mode 1
		.amdhsa_fp16_overflow 0
		.amdhsa_exception_fp_ieee_invalid_op 0
		.amdhsa_exception_fp_denorm_src 0
		.amdhsa_exception_fp_ieee_div_zero 0
		.amdhsa_exception_fp_ieee_overflow 0
		.amdhsa_exception_fp_ieee_underflow 0
		.amdhsa_exception_fp_ieee_inexact 0
		.amdhsa_exception_int_div_zero 0
	.end_amdhsa_kernel
	.section	.text._ZN9rocsparseL19coomvn_atomic_loopsILj256ELj1ElaaiiEEvlNS_24const_host_device_scalarIT5_EEPKT1_S6_PKT2_PKT3_PT4_21rocsparse_index_base_b,"axG",@progbits,_ZN9rocsparseL19coomvn_atomic_loopsILj256ELj1ElaaiiEEvlNS_24const_host_device_scalarIT5_EEPKT1_S6_PKT2_PKT3_PT4_21rocsparse_index_base_b,comdat
.Lfunc_end50:
	.size	_ZN9rocsparseL19coomvn_atomic_loopsILj256ELj1ElaaiiEEvlNS_24const_host_device_scalarIT5_EEPKT1_S6_PKT2_PKT3_PT4_21rocsparse_index_base_b, .Lfunc_end50-_ZN9rocsparseL19coomvn_atomic_loopsILj256ELj1ElaaiiEEvlNS_24const_host_device_scalarIT5_EEPKT1_S6_PKT2_PKT3_PT4_21rocsparse_index_base_b
                                        ; -- End function
	.set _ZN9rocsparseL19coomvn_atomic_loopsILj256ELj1ElaaiiEEvlNS_24const_host_device_scalarIT5_EEPKT1_S6_PKT2_PKT3_PT4_21rocsparse_index_base_b.num_vgpr, 12
	.set _ZN9rocsparseL19coomvn_atomic_loopsILj256ELj1ElaaiiEEvlNS_24const_host_device_scalarIT5_EEPKT1_S6_PKT2_PKT3_PT4_21rocsparse_index_base_b.num_agpr, 0
	.set _ZN9rocsparseL19coomvn_atomic_loopsILj256ELj1ElaaiiEEvlNS_24const_host_device_scalarIT5_EEPKT1_S6_PKT2_PKT3_PT4_21rocsparse_index_base_b.numbered_sgpr, 18
	.set _ZN9rocsparseL19coomvn_atomic_loopsILj256ELj1ElaaiiEEvlNS_24const_host_device_scalarIT5_EEPKT1_S6_PKT2_PKT3_PT4_21rocsparse_index_base_b.num_named_barrier, 0
	.set _ZN9rocsparseL19coomvn_atomic_loopsILj256ELj1ElaaiiEEvlNS_24const_host_device_scalarIT5_EEPKT1_S6_PKT2_PKT3_PT4_21rocsparse_index_base_b.private_seg_size, 0
	.set _ZN9rocsparseL19coomvn_atomic_loopsILj256ELj1ElaaiiEEvlNS_24const_host_device_scalarIT5_EEPKT1_S6_PKT2_PKT3_PT4_21rocsparse_index_base_b.uses_vcc, 1
	.set _ZN9rocsparseL19coomvn_atomic_loopsILj256ELj1ElaaiiEEvlNS_24const_host_device_scalarIT5_EEPKT1_S6_PKT2_PKT3_PT4_21rocsparse_index_base_b.uses_flat_scratch, 0
	.set _ZN9rocsparseL19coomvn_atomic_loopsILj256ELj1ElaaiiEEvlNS_24const_host_device_scalarIT5_EEPKT1_S6_PKT2_PKT3_PT4_21rocsparse_index_base_b.has_dyn_sized_stack, 0
	.set _ZN9rocsparseL19coomvn_atomic_loopsILj256ELj1ElaaiiEEvlNS_24const_host_device_scalarIT5_EEPKT1_S6_PKT2_PKT3_PT4_21rocsparse_index_base_b.has_recursion, 0
	.set _ZN9rocsparseL19coomvn_atomic_loopsILj256ELj1ElaaiiEEvlNS_24const_host_device_scalarIT5_EEPKT1_S6_PKT2_PKT3_PT4_21rocsparse_index_base_b.has_indirect_call, 0
	.section	.AMDGPU.csdata,"",@progbits
; Kernel info:
; codeLenInByte = 1176
; TotalNumSgprs: 22
; NumVgprs: 12
; ScratchSize: 0
; MemoryBound: 0
; FloatMode: 240
; IeeeMode: 1
; LDSByteSize: 3072 bytes/workgroup (compile time only)
; SGPRBlocks: 2
; VGPRBlocks: 2
; NumSGPRsForWavesPerEU: 22
; NumVGPRsForWavesPerEU: 12
; Occupancy: 10
; WaveLimiterHint : 1
; COMPUTE_PGM_RSRC2:SCRATCH_EN: 0
; COMPUTE_PGM_RSRC2:USER_SGPR: 6
; COMPUTE_PGM_RSRC2:TRAP_HANDLER: 0
; COMPUTE_PGM_RSRC2:TGID_X_EN: 1
; COMPUTE_PGM_RSRC2:TGID_Y_EN: 0
; COMPUTE_PGM_RSRC2:TGID_Z_EN: 0
; COMPUTE_PGM_RSRC2:TIDIG_COMP_CNT: 0
	.section	.text._ZN9rocsparseL19coomvn_atomic_loopsILj256ELj2ElaaiiEEvlNS_24const_host_device_scalarIT5_EEPKT1_S6_PKT2_PKT3_PT4_21rocsparse_index_base_b,"axG",@progbits,_ZN9rocsparseL19coomvn_atomic_loopsILj256ELj2ElaaiiEEvlNS_24const_host_device_scalarIT5_EEPKT1_S6_PKT2_PKT3_PT4_21rocsparse_index_base_b,comdat
	.globl	_ZN9rocsparseL19coomvn_atomic_loopsILj256ELj2ElaaiiEEvlNS_24const_host_device_scalarIT5_EEPKT1_S6_PKT2_PKT3_PT4_21rocsparse_index_base_b ; -- Begin function _ZN9rocsparseL19coomvn_atomic_loopsILj256ELj2ElaaiiEEvlNS_24const_host_device_scalarIT5_EEPKT1_S6_PKT2_PKT3_PT4_21rocsparse_index_base_b
	.p2align	8
	.type	_ZN9rocsparseL19coomvn_atomic_loopsILj256ELj2ElaaiiEEvlNS_24const_host_device_scalarIT5_EEPKT1_S6_PKT2_PKT3_PT4_21rocsparse_index_base_b,@function
_ZN9rocsparseL19coomvn_atomic_loopsILj256ELj2ElaaiiEEvlNS_24const_host_device_scalarIT5_EEPKT1_S6_PKT2_PKT3_PT4_21rocsparse_index_base_b: ; @_ZN9rocsparseL19coomvn_atomic_loopsILj256ELj2ElaaiiEEvlNS_24const_host_device_scalarIT5_EEPKT1_S6_PKT2_PKT3_PT4_21rocsparse_index_base_b
; %bb.0:
	s_load_dwordx2 s[34:35], s[4:5], 0x38
	s_load_dwordx4 s[36:39], s[4:5], 0x0
	s_waitcnt lgkmcnt(0)
	s_bitcmp0_b32 s35, 0
	s_cbranch_scc0 .LBB51_2
; %bb.1:
	s_load_dword s33, s[38:39], 0x0
	s_cbranch_execz .LBB51_3
	s_branch .LBB51_4
.LBB51_2:
                                        ; implicit-def: $sgpr33
.LBB51_3:
	s_waitcnt lgkmcnt(0)
	s_mov_b32 s33, s38
.LBB51_4:
	s_waitcnt lgkmcnt(0)
	s_cmp_eq_u32 s33, 0
	s_cbranch_scc1 .LBB51_90
; %bb.5:
	s_load_dwordx8 s[24:31], s[4:5], 0x10
	v_lshl_or_b32 v1, s6, 9, v0
	v_mov_b32_e32 v2, 0
	v_cmp_gt_i64_e32 vcc, s[36:37], v[1:2]
	v_mov_b32_e32 v5, -1
	v_lshlrev_b64 v[3:4], 3, v[1:2]
	v_mov_b32_e32 v6, -1
	s_and_saveexec_b64 s[0:1], vcc
	s_cbranch_execz .LBB51_7
; %bb.6:
	s_waitcnt lgkmcnt(0)
	v_mov_b32_e32 v2, s27
	v_add_co_u32_e32 v5, vcc, s26, v3
	v_addc_co_u32_e32 v6, vcc, v2, v4, vcc
	global_load_dwordx2 v[5:6], v[5:6], off glc slc
	v_mov_b32_e32 v2, s25
	v_add_co_u32_e32 v7, vcc, s24, v3
	v_addc_co_u32_e32 v8, vcc, v2, v4, vcc
	v_mov_b32_e32 v10, s29
	v_add_co_u32_e32 v9, vcc, s28, v1
	v_addc_co_u32_e32 v10, vcc, 0, v10, vcc
	v_mov_b32_e32 v13, s31
	global_load_dwordx2 v[11:12], v[7:8], off glc slc
	global_load_sbyte v2, v[9:10], off glc slc
	s_waitcnt vmcnt(2)
	v_subrev_co_u32_e32 v5, vcc, s34, v5
	v_subbrev_co_u32_e32 v6, vcc, 0, v6, vcc
	v_add_co_u32_e32 v5, vcc, s30, v5
	v_addc_co_u32_e32 v6, vcc, v13, v6, vcc
	global_load_sbyte v7, v[5:6], off
	s_waitcnt vmcnt(2)
	v_subrev_co_u32_e32 v5, vcc, s34, v11
	v_subbrev_co_u32_e32 v6, vcc, 0, v12, vcc
	s_waitcnt vmcnt(0)
	v_mul_i32_i24_e32 v2, v7, v2
.LBB51_7:
	s_or_b64 exec, exec, s[0:1]
	v_lshlrev_b32_e32 v7, 3, v0
	v_lshlrev_b32_e32 v9, 2, v0
	v_or_b32_e32 v8, 0x800, v9
	ds_write_b32 v9, v2 offset:2048
	v_cmp_eq_u32_e64 s[18:19], 0, v0
	v_cmp_ne_u32_e64 s[0:1], 0, v0
	v_add_u32_e32 v9, -8, v7
	ds_write_b64 v7, v[5:6]
	s_waitcnt lgkmcnt(0)
	s_barrier
	s_and_saveexec_b64 s[2:3], s[0:1]
	s_cbranch_execz .LBB51_11
; %bb.8:
	ds_read_b64 v[10:11], v9
	s_waitcnt lgkmcnt(0)
	v_cmp_eq_u64_e32 vcc, v[5:6], v[10:11]
	s_and_saveexec_b64 s[6:7], vcc
	s_cbranch_execz .LBB51_10
; %bb.9:
	v_add_u32_e32 v10, -4, v8
	ds_read_b32 v10, v10
	s_waitcnt lgkmcnt(0)
	v_add_u32_e32 v2, v10, v2
.LBB51_10:
	s_or_b64 exec, exec, s[6:7]
.LBB51_11:
	s_or_b64 exec, exec, s[2:3]
	v_cmp_lt_u32_e64 s[2:3], 1, v0
	v_add_u32_e32 v10, -16, v7
	s_barrier
	ds_write_b32 v8, v2
	s_waitcnt lgkmcnt(0)
	s_barrier
	s_and_saveexec_b64 s[6:7], s[2:3]
	s_cbranch_execz .LBB51_15
; %bb.12:
	ds_read_b64 v[11:12], v10
	s_waitcnt lgkmcnt(0)
	v_cmp_eq_u64_e32 vcc, v[5:6], v[11:12]
	s_and_saveexec_b64 s[8:9], vcc
	s_cbranch_execz .LBB51_14
; %bb.13:
	v_add_u32_e32 v11, -8, v8
	ds_read_b32 v11, v11
	s_waitcnt lgkmcnt(0)
	v_add_u32_e32 v2, v11, v2
.LBB51_14:
	s_or_b64 exec, exec, s[8:9]
.LBB51_15:
	s_or_b64 exec, exec, s[6:7]
	v_cmp_lt_u32_e64 s[20:21], 3, v0
	v_subrev_u32_e32 v11, 32, v7
	s_barrier
	ds_write_b32 v8, v2
	s_waitcnt lgkmcnt(0)
	s_barrier
	s_and_saveexec_b64 s[6:7], s[20:21]
	s_cbranch_execz .LBB51_19
; %bb.16:
	ds_read_b64 v[12:13], v11
	s_waitcnt lgkmcnt(0)
	v_cmp_eq_u64_e32 vcc, v[5:6], v[12:13]
	s_and_saveexec_b64 s[8:9], vcc
	s_cbranch_execz .LBB51_18
; %bb.17:
	v_add_u32_e32 v12, -16, v8
	ds_read_b32 v12, v12
	s_waitcnt lgkmcnt(0)
	v_add_u32_e32 v2, v12, v2
.LBB51_18:
	s_or_b64 exec, exec, s[8:9]
.LBB51_19:
	s_or_b64 exec, exec, s[6:7]
	v_cmp_lt_u32_e64 s[6:7], 7, v0
	v_subrev_u32_e32 v12, 64, v7
	s_barrier
	ds_write_b32 v8, v2
	s_waitcnt lgkmcnt(0)
	s_barrier
	s_and_saveexec_b64 s[8:9], s[6:7]
	s_cbranch_execz .LBB51_23
; %bb.20:
	ds_read_b64 v[13:14], v12
	s_waitcnt lgkmcnt(0)
	v_cmp_eq_u64_e32 vcc, v[5:6], v[13:14]
	s_and_saveexec_b64 s[10:11], vcc
	s_cbranch_execz .LBB51_22
; %bb.21:
	v_subrev_u32_e32 v13, 32, v8
	ds_read_b32 v13, v13
	s_waitcnt lgkmcnt(0)
	v_add_u32_e32 v2, v13, v2
.LBB51_22:
	s_or_b64 exec, exec, s[10:11]
.LBB51_23:
	s_or_b64 exec, exec, s[8:9]
	v_cmp_lt_u32_e64 s[8:9], 15, v0
	s_barrier
	ds_write_b32 v8, v2
	s_waitcnt lgkmcnt(0)
	s_barrier
	s_and_saveexec_b64 s[10:11], s[8:9]
	s_cbranch_execz .LBB51_27
; %bb.24:
	v_add_u32_e32 v13, 0xffffff80, v7
	ds_read_b64 v[13:14], v13
	s_waitcnt lgkmcnt(0)
	v_cmp_eq_u64_e32 vcc, v[5:6], v[13:14]
	s_and_saveexec_b64 s[12:13], vcc
	s_cbranch_execz .LBB51_26
; %bb.25:
	v_subrev_u32_e32 v13, 64, v8
	ds_read_b32 v13, v13
	s_waitcnt lgkmcnt(0)
	v_add_u32_e32 v2, v13, v2
.LBB51_26:
	s_or_b64 exec, exec, s[12:13]
.LBB51_27:
	s_or_b64 exec, exec, s[10:11]
	v_cmp_lt_u32_e64 s[10:11], 31, v0
	s_barrier
	ds_write_b32 v8, v2
	s_waitcnt lgkmcnt(0)
	s_barrier
	s_and_saveexec_b64 s[12:13], s[10:11]
	s_cbranch_execz .LBB51_31
; %bb.28:
	v_add_u32_e32 v13, 0xffffff00, v7
	ds_read_b64 v[13:14], v13
	s_waitcnt lgkmcnt(0)
	v_cmp_eq_u64_e32 vcc, v[5:6], v[13:14]
	s_and_saveexec_b64 s[14:15], vcc
	s_cbranch_execz .LBB51_30
; %bb.29:
	v_add_u32_e32 v13, 0xffffff80, v8
	ds_read_b32 v13, v13
	s_waitcnt lgkmcnt(0)
	v_add_u32_e32 v2, v13, v2
.LBB51_30:
	s_or_b64 exec, exec, s[14:15]
.LBB51_31:
	s_or_b64 exec, exec, s[12:13]
	v_cmp_lt_u32_e64 s[12:13], 63, v0
	s_barrier
	ds_write_b32 v8, v2
	s_waitcnt lgkmcnt(0)
	s_barrier
	s_and_saveexec_b64 s[14:15], s[12:13]
	s_cbranch_execz .LBB51_35
; %bb.32:
	v_add_u32_e32 v13, 0xfffffe00, v7
	ds_read_b64 v[13:14], v13
	s_waitcnt lgkmcnt(0)
	v_cmp_eq_u64_e32 vcc, v[5:6], v[13:14]
	s_and_saveexec_b64 s[16:17], vcc
	s_cbranch_execz .LBB51_34
; %bb.33:
	v_add_u32_e32 v13, 0xffffff00, v8
	ds_read_b32 v13, v13
	s_waitcnt lgkmcnt(0)
	v_add_u32_e32 v2, v13, v2
.LBB51_34:
	s_or_b64 exec, exec, s[16:17]
.LBB51_35:
	s_or_b64 exec, exec, s[14:15]
	s_load_dwordx2 s[22:23], s[4:5], 0x30
	s_movk_i32 s4, 0x7f
	v_cmp_lt_u32_e64 s[14:15], s4, v0
	s_waitcnt lgkmcnt(0)
	s_barrier
	ds_write_b32 v8, v2
	s_waitcnt lgkmcnt(0)
	s_barrier
	s_and_saveexec_b64 s[4:5], s[14:15]
	s_cbranch_execz .LBB51_39
; %bb.36:
	v_add_u32_e32 v13, 0xfffffc00, v7
	ds_read_b64 v[13:14], v13
	s_waitcnt lgkmcnt(0)
	v_cmp_eq_u64_e32 vcc, v[5:6], v[13:14]
	s_and_saveexec_b64 s[16:17], vcc
	s_cbranch_execz .LBB51_38
; %bb.37:
	v_add_u32_e32 v13, 0xfffffe00, v8
	ds_read_b32 v13, v13
	s_waitcnt lgkmcnt(0)
	v_add_u32_e32 v2, v13, v2
.LBB51_38:
	s_or_b64 exec, exec, s[16:17]
.LBB51_39:
	s_or_b64 exec, exec, s[4:5]
	s_movk_i32 s4, 0xff
	v_cmp_gt_u32_e64 s[16:17], s4, v0
	s_barrier
	ds_write_b32 v8, v2
	s_waitcnt lgkmcnt(0)
	s_barrier
	s_and_saveexec_b64 s[38:39], s[16:17]
	s_cbranch_execz .LBB51_42
; %bb.40:
	ds_read_b64 v[13:14], v7 offset:8
	v_cmp_lt_i64_e64 s[4:5], -1, v[5:6]
	s_waitcnt lgkmcnt(0)
	v_cmp_ne_u64_e32 vcc, v[5:6], v[13:14]
	s_and_b64 s[4:5], s[4:5], vcc
	s_and_b64 exec, exec, s[4:5]
	s_cbranch_execz .LBB51_42
; %bb.41:
	v_lshlrev_b64 v[5:6], 2, v[5:6]
	v_mul_lo_u32 v2, v2, s33
	v_mov_b32_e32 v13, s23
	v_add_co_u32_e32 v5, vcc, s22, v5
	v_addc_co_u32_e32 v6, vcc, v13, v6, vcc
	global_atomic_add v[5:6], v2, off
.LBB51_42:
	s_or_b64 exec, exec, s[38:39]
	v_add_co_u32_e32 v5, vcc, 0x100, v1
	v_addc_co_u32_e64 v6, s[4:5], 0, 0, vcc
	v_cmp_gt_i64_e32 vcc, s[36:37], v[5:6]
	v_mov_b32_e32 v5, -1
	v_mov_b32_e32 v6, -1
	v_mov_b32_e32 v13, 0
	s_and_saveexec_b64 s[4:5], vcc
	s_cbranch_execz .LBB51_44
; %bb.43:
	v_mov_b32_e32 v2, s27
	v_add_co_u32_e32 v5, vcc, s26, v3
	v_addc_co_u32_e32 v6, vcc, v2, v4, vcc
	global_load_dwordx2 v[5:6], v[5:6], off offset:2048 glc slc
	v_mov_b32_e32 v13, s25
	v_add_co_u32_e32 v2, vcc, s24, v3
	v_addc_co_u32_e32 v3, vcc, v13, v4, vcc
	v_mov_b32_e32 v14, s29
	v_add_co_u32_e32 v13, vcc, s28, v1
	v_addc_co_u32_e32 v14, vcc, 0, v14, vcc
	global_load_dwordx2 v[15:16], v[2:3], off offset:2048 glc slc
	global_load_sbyte v4, v[13:14], off offset:256 glc slc
	v_mov_b32_e32 v17, s31
	s_waitcnt vmcnt(2)
	v_subrev_co_u32_e32 v1, vcc, s34, v5
	v_subbrev_co_u32_e32 v2, vcc, 0, v6, vcc
	v_add_co_u32_e32 v1, vcc, s30, v1
	v_addc_co_u32_e32 v2, vcc, v17, v2, vcc
	global_load_sbyte v1, v[1:2], off
	s_waitcnt vmcnt(2)
	v_subrev_co_u32_e32 v5, vcc, s34, v15
	v_subbrev_co_u32_e32 v6, vcc, 0, v16, vcc
	s_waitcnt vmcnt(0)
	v_mul_i32_i24_e32 v13, v1, v4
.LBB51_44:
	s_or_b64 exec, exec, s[4:5]
	s_and_saveexec_b64 s[4:5], s[18:19]
	s_cbranch_execz .LBB51_53
; %bb.45:
	v_mov_b32_e32 v1, 0
	ds_read_b64 v[1:2], v1 offset:2040
	s_waitcnt lgkmcnt(0)
	v_cmp_ne_u64_e32 vcc, v[5:6], v[1:2]
	s_and_saveexec_b64 s[18:19], vcc
	s_xor_b64 s[18:19], exec, s[18:19]
	s_cbranch_execz .LBB51_50
; %bb.46:
	v_cmp_gt_i64_e32 vcc, 0, v[1:2]
	s_cbranch_vccnz .LBB51_50
; %bb.47:
	s_mov_b64 s[26:27], exec
	v_mbcnt_lo_u32_b32 v3, s26, 0
	v_mbcnt_hi_u32_b32 v3, s27, v3
	v_cmp_eq_u32_e32 vcc, 0, v3
	s_and_saveexec_b64 s[24:25], vcc
	s_cbranch_execz .LBB51_49
; %bb.48:
	v_mov_b32_e32 v3, 0
	ds_read_b32 v3, v3 offset:3068
	s_bcnt1_i32_b64 s26, s[26:27]
	v_lshlrev_b64 v[1:2], 2, v[1:2]
	v_mov_b32_e32 v4, s23
	v_add_co_u32_e32 v1, vcc, s22, v1
	s_waitcnt lgkmcnt(0)
	v_mul_lo_u32 v3, v3, s33
	v_addc_co_u32_e32 v2, vcc, v4, v2, vcc
	v_mul_lo_u32 v3, v3, s26
	global_atomic_add v[1:2], v3, off
.LBB51_49:
	s_or_b64 exec, exec, s[24:25]
.LBB51_50:
	s_andn2_saveexec_b64 s[18:19], s[18:19]
	s_cbranch_execz .LBB51_52
; %bb.51:
	v_mov_b32_e32 v1, 0
	ds_read_b32 v1, v1 offset:3068
	s_waitcnt lgkmcnt(0)
	v_add_u32_e32 v13, v1, v13
.LBB51_52:
	s_or_b64 exec, exec, s[18:19]
.LBB51_53:
	s_or_b64 exec, exec, s[4:5]
	s_waitcnt vmcnt(0)
	s_barrier
	ds_write_b64 v7, v[5:6]
	ds_write_b32 v8, v13
	s_waitcnt lgkmcnt(0)
	s_barrier
	s_and_saveexec_b64 s[4:5], s[0:1]
	s_cbranch_execz .LBB51_57
; %bb.54:
	ds_read_b64 v[1:2], v9
	s_waitcnt lgkmcnt(0)
	v_cmp_eq_u64_e32 vcc, v[5:6], v[1:2]
	s_and_saveexec_b64 s[0:1], vcc
	s_cbranch_execz .LBB51_56
; %bb.55:
	v_add_u32_e32 v1, -4, v8
	ds_read_b32 v1, v1
	s_waitcnt lgkmcnt(0)
	v_add_u32_e32 v13, v1, v13
.LBB51_56:
	s_or_b64 exec, exec, s[0:1]
.LBB51_57:
	s_or_b64 exec, exec, s[4:5]
	s_barrier
	ds_write_b32 v8, v13
	s_waitcnt lgkmcnt(0)
	s_barrier
	s_and_saveexec_b64 s[0:1], s[2:3]
	s_cbranch_execz .LBB51_61
; %bb.58:
	ds_read_b64 v[1:2], v10
	s_waitcnt lgkmcnt(0)
	v_cmp_eq_u64_e32 vcc, v[5:6], v[1:2]
	s_and_saveexec_b64 s[2:3], vcc
	s_cbranch_execz .LBB51_60
; %bb.59:
	v_add_u32_e32 v1, -8, v8
	ds_read_b32 v1, v1
	s_waitcnt lgkmcnt(0)
	v_add_u32_e32 v13, v1, v13
.LBB51_60:
	s_or_b64 exec, exec, s[2:3]
.LBB51_61:
	s_or_b64 exec, exec, s[0:1]
	s_barrier
	;; [unrolled: 21-line block ×3, first 2 shown]
	ds_write_b32 v8, v13
	s_waitcnt lgkmcnt(0)
	s_barrier
	s_and_saveexec_b64 s[0:1], s[6:7]
	s_cbranch_execz .LBB51_69
; %bb.66:
	ds_read_b64 v[1:2], v12
	s_waitcnt lgkmcnt(0)
	v_cmp_eq_u64_e32 vcc, v[5:6], v[1:2]
	s_and_saveexec_b64 s[2:3], vcc
	s_cbranch_execz .LBB51_68
; %bb.67:
	v_subrev_u32_e32 v1, 32, v8
	ds_read_b32 v1, v1
	s_waitcnt lgkmcnt(0)
	v_add_u32_e32 v13, v1, v13
.LBB51_68:
	s_or_b64 exec, exec, s[2:3]
.LBB51_69:
	s_or_b64 exec, exec, s[0:1]
	s_barrier
	ds_write_b32 v8, v13
	s_waitcnt lgkmcnt(0)
	s_barrier
	s_and_saveexec_b64 s[0:1], s[8:9]
	s_cbranch_execz .LBB51_73
; %bb.70:
	v_add_u32_e32 v1, 0xffffff80, v7
	ds_read_b64 v[1:2], v1
	s_waitcnt lgkmcnt(0)
	v_cmp_eq_u64_e32 vcc, v[5:6], v[1:2]
	s_and_saveexec_b64 s[2:3], vcc
	s_cbranch_execz .LBB51_72
; %bb.71:
	v_subrev_u32_e32 v1, 64, v8
	ds_read_b32 v1, v1
	s_waitcnt lgkmcnt(0)
	v_add_u32_e32 v13, v1, v13
.LBB51_72:
	s_or_b64 exec, exec, s[2:3]
.LBB51_73:
	s_or_b64 exec, exec, s[0:1]
	s_barrier
	ds_write_b32 v8, v13
	s_waitcnt lgkmcnt(0)
	s_barrier
	s_and_saveexec_b64 s[0:1], s[10:11]
	s_cbranch_execz .LBB51_77
; %bb.74:
	v_add_u32_e32 v1, 0xffffff00, v7
	ds_read_b64 v[1:2], v1
	s_waitcnt lgkmcnt(0)
	v_cmp_eq_u64_e32 vcc, v[5:6], v[1:2]
	s_and_saveexec_b64 s[2:3], vcc
	s_cbranch_execz .LBB51_76
; %bb.75:
	v_add_u32_e32 v1, 0xffffff80, v8
	ds_read_b32 v1, v1
	s_waitcnt lgkmcnt(0)
	v_add_u32_e32 v13, v1, v13
.LBB51_76:
	s_or_b64 exec, exec, s[2:3]
.LBB51_77:
	s_or_b64 exec, exec, s[0:1]
	s_barrier
	ds_write_b32 v8, v13
	s_waitcnt lgkmcnt(0)
	s_barrier
	s_and_saveexec_b64 s[0:1], s[12:13]
	s_cbranch_execz .LBB51_81
; %bb.78:
	v_add_u32_e32 v1, 0xfffffe00, v7
	ds_read_b64 v[1:2], v1
	s_waitcnt lgkmcnt(0)
	v_cmp_eq_u64_e32 vcc, v[5:6], v[1:2]
	s_and_saveexec_b64 s[2:3], vcc
	s_cbranch_execz .LBB51_80
; %bb.79:
	v_add_u32_e32 v1, 0xffffff00, v8
	ds_read_b32 v1, v1
	s_waitcnt lgkmcnt(0)
	v_add_u32_e32 v13, v1, v13
.LBB51_80:
	s_or_b64 exec, exec, s[2:3]
.LBB51_81:
	;; [unrolled: 22-line block ×3, first 2 shown]
	s_or_b64 exec, exec, s[0:1]
	s_barrier
	ds_write_b32 v8, v13
	s_waitcnt lgkmcnt(0)
	s_barrier
	s_and_saveexec_b64 s[2:3], s[16:17]
	s_cbranch_execz .LBB51_88
; %bb.86:
	ds_read_b64 v[1:2], v7 offset:8
	v_cmp_lt_i64_e64 s[0:1], -1, v[5:6]
	s_waitcnt lgkmcnt(0)
	v_cmp_ne_u64_e32 vcc, v[5:6], v[1:2]
	s_and_b64 s[0:1], s[0:1], vcc
	s_and_b64 exec, exec, s[0:1]
	s_cbranch_execz .LBB51_88
; %bb.87:
	v_lshlrev_b64 v[1:2], 2, v[5:6]
	v_mul_lo_u32 v4, v13, s33
	v_mov_b32_e32 v3, s23
	v_add_co_u32_e32 v1, vcc, s22, v1
	v_addc_co_u32_e32 v2, vcc, v3, v2, vcc
	global_atomic_add v[1:2], v4, off
.LBB51_88:
	s_or_b64 exec, exec, s[2:3]
	s_movk_i32 s0, 0xff
	v_cmp_lt_i64_e32 vcc, -1, v[5:6]
	v_cmp_eq_u32_e64 s[0:1], s0, v0
	s_and_b64 s[0:1], s[0:1], vcc
	s_and_saveexec_b64 s[2:3], s[0:1]
	s_cbranch_execz .LBB51_90
; %bb.89:
	v_lshlrev_b64 v[0:1], 2, v[5:6]
	v_mul_lo_u32 v3, v13, s33
	v_mov_b32_e32 v2, s23
	v_add_co_u32_e32 v0, vcc, s22, v0
	v_addc_co_u32_e32 v1, vcc, v2, v1, vcc
	global_atomic_add v[0:1], v3, off
.LBB51_90:
	s_endpgm
	.section	.rodata,"a",@progbits
	.p2align	6, 0x0
	.amdhsa_kernel _ZN9rocsparseL19coomvn_atomic_loopsILj256ELj2ElaaiiEEvlNS_24const_host_device_scalarIT5_EEPKT1_S6_PKT2_PKT3_PT4_21rocsparse_index_base_b
		.amdhsa_group_segment_fixed_size 3072
		.amdhsa_private_segment_fixed_size 0
		.amdhsa_kernarg_size 64
		.amdhsa_user_sgpr_count 6
		.amdhsa_user_sgpr_private_segment_buffer 1
		.amdhsa_user_sgpr_dispatch_ptr 0
		.amdhsa_user_sgpr_queue_ptr 0
		.amdhsa_user_sgpr_kernarg_segment_ptr 1
		.amdhsa_user_sgpr_dispatch_id 0
		.amdhsa_user_sgpr_flat_scratch_init 0
		.amdhsa_user_sgpr_private_segment_size 0
		.amdhsa_uses_dynamic_stack 0
		.amdhsa_system_sgpr_private_segment_wavefront_offset 0
		.amdhsa_system_sgpr_workgroup_id_x 1
		.amdhsa_system_sgpr_workgroup_id_y 0
		.amdhsa_system_sgpr_workgroup_id_z 0
		.amdhsa_system_sgpr_workgroup_info 0
		.amdhsa_system_vgpr_workitem_id 0
		.amdhsa_next_free_vgpr 18
		.amdhsa_next_free_sgpr 40
		.amdhsa_reserve_vcc 1
		.amdhsa_reserve_flat_scratch 0
		.amdhsa_float_round_mode_32 0
		.amdhsa_float_round_mode_16_64 0
		.amdhsa_float_denorm_mode_32 3
		.amdhsa_float_denorm_mode_16_64 3
		.amdhsa_dx10_clamp 1
		.amdhsa_ieee_mode 1
		.amdhsa_fp16_overflow 0
		.amdhsa_exception_fp_ieee_invalid_op 0
		.amdhsa_exception_fp_denorm_src 0
		.amdhsa_exception_fp_ieee_div_zero 0
		.amdhsa_exception_fp_ieee_overflow 0
		.amdhsa_exception_fp_ieee_underflow 0
		.amdhsa_exception_fp_ieee_inexact 0
		.amdhsa_exception_int_div_zero 0
	.end_amdhsa_kernel
	.section	.text._ZN9rocsparseL19coomvn_atomic_loopsILj256ELj2ElaaiiEEvlNS_24const_host_device_scalarIT5_EEPKT1_S6_PKT2_PKT3_PT4_21rocsparse_index_base_b,"axG",@progbits,_ZN9rocsparseL19coomvn_atomic_loopsILj256ELj2ElaaiiEEvlNS_24const_host_device_scalarIT5_EEPKT1_S6_PKT2_PKT3_PT4_21rocsparse_index_base_b,comdat
.Lfunc_end51:
	.size	_ZN9rocsparseL19coomvn_atomic_loopsILj256ELj2ElaaiiEEvlNS_24const_host_device_scalarIT5_EEPKT1_S6_PKT2_PKT3_PT4_21rocsparse_index_base_b, .Lfunc_end51-_ZN9rocsparseL19coomvn_atomic_loopsILj256ELj2ElaaiiEEvlNS_24const_host_device_scalarIT5_EEPKT1_S6_PKT2_PKT3_PT4_21rocsparse_index_base_b
                                        ; -- End function
	.set _ZN9rocsparseL19coomvn_atomic_loopsILj256ELj2ElaaiiEEvlNS_24const_host_device_scalarIT5_EEPKT1_S6_PKT2_PKT3_PT4_21rocsparse_index_base_b.num_vgpr, 18
	.set _ZN9rocsparseL19coomvn_atomic_loopsILj256ELj2ElaaiiEEvlNS_24const_host_device_scalarIT5_EEPKT1_S6_PKT2_PKT3_PT4_21rocsparse_index_base_b.num_agpr, 0
	.set _ZN9rocsparseL19coomvn_atomic_loopsILj256ELj2ElaaiiEEvlNS_24const_host_device_scalarIT5_EEPKT1_S6_PKT2_PKT3_PT4_21rocsparse_index_base_b.numbered_sgpr, 40
	.set _ZN9rocsparseL19coomvn_atomic_loopsILj256ELj2ElaaiiEEvlNS_24const_host_device_scalarIT5_EEPKT1_S6_PKT2_PKT3_PT4_21rocsparse_index_base_b.num_named_barrier, 0
	.set _ZN9rocsparseL19coomvn_atomic_loopsILj256ELj2ElaaiiEEvlNS_24const_host_device_scalarIT5_EEPKT1_S6_PKT2_PKT3_PT4_21rocsparse_index_base_b.private_seg_size, 0
	.set _ZN9rocsparseL19coomvn_atomic_loopsILj256ELj2ElaaiiEEvlNS_24const_host_device_scalarIT5_EEPKT1_S6_PKT2_PKT3_PT4_21rocsparse_index_base_b.uses_vcc, 1
	.set _ZN9rocsparseL19coomvn_atomic_loopsILj256ELj2ElaaiiEEvlNS_24const_host_device_scalarIT5_EEPKT1_S6_PKT2_PKT3_PT4_21rocsparse_index_base_b.uses_flat_scratch, 0
	.set _ZN9rocsparseL19coomvn_atomic_loopsILj256ELj2ElaaiiEEvlNS_24const_host_device_scalarIT5_EEPKT1_S6_PKT2_PKT3_PT4_21rocsparse_index_base_b.has_dyn_sized_stack, 0
	.set _ZN9rocsparseL19coomvn_atomic_loopsILj256ELj2ElaaiiEEvlNS_24const_host_device_scalarIT5_EEPKT1_S6_PKT2_PKT3_PT4_21rocsparse_index_base_b.has_recursion, 0
	.set _ZN9rocsparseL19coomvn_atomic_loopsILj256ELj2ElaaiiEEvlNS_24const_host_device_scalarIT5_EEPKT1_S6_PKT2_PKT3_PT4_21rocsparse_index_base_b.has_indirect_call, 0
	.section	.AMDGPU.csdata,"",@progbits
; Kernel info:
; codeLenInByte = 2364
; TotalNumSgprs: 44
; NumVgprs: 18
; ScratchSize: 0
; MemoryBound: 0
; FloatMode: 240
; IeeeMode: 1
; LDSByteSize: 3072 bytes/workgroup (compile time only)
; SGPRBlocks: 5
; VGPRBlocks: 4
; NumSGPRsForWavesPerEU: 44
; NumVGPRsForWavesPerEU: 18
; Occupancy: 10
; WaveLimiterHint : 1
; COMPUTE_PGM_RSRC2:SCRATCH_EN: 0
; COMPUTE_PGM_RSRC2:USER_SGPR: 6
; COMPUTE_PGM_RSRC2:TRAP_HANDLER: 0
; COMPUTE_PGM_RSRC2:TGID_X_EN: 1
; COMPUTE_PGM_RSRC2:TGID_Y_EN: 0
; COMPUTE_PGM_RSRC2:TGID_Z_EN: 0
; COMPUTE_PGM_RSRC2:TIDIG_COMP_CNT: 0
	.section	.text._ZN9rocsparseL22coomvn_segmented_loopsILj256EiaaffEEvlT0_NS_24const_host_device_scalarIT4_EEPKS1_S6_PKT1_PKT2_PT3_PS1_PS3_21rocsparse_index_base_b,"axG",@progbits,_ZN9rocsparseL22coomvn_segmented_loopsILj256EiaaffEEvlT0_NS_24const_host_device_scalarIT4_EEPKS1_S6_PKT1_PKT2_PT3_PS1_PS3_21rocsparse_index_base_b,comdat
	.globl	_ZN9rocsparseL22coomvn_segmented_loopsILj256EiaaffEEvlT0_NS_24const_host_device_scalarIT4_EEPKS1_S6_PKT1_PKT2_PT3_PS1_PS3_21rocsparse_index_base_b ; -- Begin function _ZN9rocsparseL22coomvn_segmented_loopsILj256EiaaffEEvlT0_NS_24const_host_device_scalarIT4_EEPKS1_S6_PKT1_PKT2_PT3_PS1_PS3_21rocsparse_index_base_b
	.p2align	8
	.type	_ZN9rocsparseL22coomvn_segmented_loopsILj256EiaaffEEvlT0_NS_24const_host_device_scalarIT4_EEPKS1_S6_PKT1_PKT2_PT3_PS1_PS3_21rocsparse_index_base_b,@function
_ZN9rocsparseL22coomvn_segmented_loopsILj256EiaaffEEvlT0_NS_24const_host_device_scalarIT4_EEPKS1_S6_PKT1_PKT2_PT3_PS1_PS3_21rocsparse_index_base_b: ; @_ZN9rocsparseL22coomvn_segmented_loopsILj256EiaaffEEvlT0_NS_24const_host_device_scalarIT4_EEPKS1_S6_PKT1_PKT2_PT3_PS1_PS3_21rocsparse_index_base_b
; %bb.0:
	s_load_dwordx2 s[30:31], s[4:5], 0x50
	s_load_dwordx2 s[28:29], s[4:5], 0x10
	s_waitcnt lgkmcnt(0)
	s_bitcmp1_b32 s31, 0
	s_cselect_b64 s[0:1], -1, 0
	s_and_b64 vcc, exec, s[0:1]
	s_cbranch_vccnz .LBB52_2
; %bb.1:
	s_load_dword s28, s[28:29], 0x0
.LBB52_2:
	s_waitcnt lgkmcnt(0)
	v_cmp_eq_f32_e64 s[0:1], s28, 0
	s_and_b64 vcc, exec, s[0:1]
	s_cbranch_vccnz .LBB52_89
; %bb.3:
	s_load_dword s31, s[4:5], 0x8
	s_load_dwordx2 s[34:35], s[4:5], 0x0
	s_load_dwordx8 s[36:43], s[4:5], 0x18
	v_mov_b32_e32 v2, 0
	v_mov_b32_e32 v3, -1
	s_waitcnt lgkmcnt(0)
	s_mul_i32 s0, s6, s31
	v_lshl_or_b32 v1, s0, 8, v0
	v_cmp_gt_i64_e32 vcc, s[34:35], v[1:2]
	v_lshlrev_b64 v[5:6], 2, v[1:2]
	s_and_saveexec_b64 s[0:1], vcc
	s_cbranch_execz .LBB52_5
; %bb.4:
	v_mov_b32_e32 v3, s39
	v_add_co_u32_e32 v2, vcc, s38, v5
	v_addc_co_u32_e32 v3, vcc, v3, v6, vcc
	global_load_dword v4, v[2:3], off glc slc
	v_mov_b32_e32 v3, s41
	v_add_co_u32_e32 v2, vcc, s40, v1
	s_ashr_i32 s2, s30, 31
	v_addc_co_u32_e32 v3, vcc, 0, v3, vcc
	v_mov_b32_e32 v8, s43
	s_sub_u32 s3, 0, s30
	global_load_sbyte v9, v[2:3], off glc slc
	s_subb_u32 s2, 0, s2
	v_mov_b32_e32 v3, s2
	v_mov_b32_e32 v7, s37
	s_waitcnt vmcnt(1)
	v_ashrrev_i32_e32 v2, 31, v4
	v_add_co_u32_e32 v4, vcc, s42, v4
	v_addc_co_u32_e32 v8, vcc, v8, v2, vcc
	v_add_co_u32_e32 v2, vcc, s3, v4
	v_addc_co_u32_e32 v3, vcc, v8, v3, vcc
	global_load_sbyte v4, v[2:3], off
	v_add_co_u32_e32 v2, vcc, s36, v5
	v_addc_co_u32_e32 v3, vcc, v7, v6, vcc
	global_load_dword v2, v[2:3], off glc slc
	s_waitcnt vmcnt(2)
	v_cvt_f32_i32_e32 v7, v9
	s_waitcnt vmcnt(1)
	v_cvt_f32_i32_e32 v4, v4
	s_waitcnt vmcnt(0)
	v_subrev_u32_e32 v3, s30, v2
	v_mul_f32_e32 v2, v7, v4
.LBB52_5:
	s_or_b64 exec, exec, s[0:1]
	v_lshlrev_b32_e32 v11, 2, v0
	v_or_b32_e32 v12, 0x400, v11
	v_cmp_eq_u32_e64 s[0:1], 0, v0
	v_cmp_ne_u32_e64 s[2:3], 0, v0
	v_add_u32_e32 v13, -4, v11
	ds_write2st64_b32 v11, v3, v2 offset1:4
	s_waitcnt lgkmcnt(0)
	s_barrier
	s_and_saveexec_b64 s[8:9], s[2:3]
	s_cbranch_execz .LBB52_9
; %bb.6:
	ds_read_b32 v4, v13
	s_waitcnt lgkmcnt(0)
	v_cmp_eq_u32_e32 vcc, v3, v4
	s_and_saveexec_b64 s[10:11], vcc
	s_cbranch_execz .LBB52_8
; %bb.7:
	v_add_u32_e32 v4, -4, v12
	ds_read_b32 v4, v4
	s_waitcnt lgkmcnt(0)
	v_add_f32_e32 v2, v2, v4
.LBB52_8:
	s_or_b64 exec, exec, s[10:11]
.LBB52_9:
	s_or_b64 exec, exec, s[8:9]
	v_cmp_lt_u32_e64 s[22:23], 1, v0
	v_add_u32_e32 v14, -8, v11
	s_barrier
	ds_write_b32 v12, v2
	s_waitcnt lgkmcnt(0)
	s_barrier
	s_and_saveexec_b64 s[8:9], s[22:23]
	s_cbranch_execz .LBB52_13
; %bb.10:
	ds_read_b32 v4, v14
	s_waitcnt lgkmcnt(0)
	v_cmp_eq_u32_e32 vcc, v3, v4
	s_and_saveexec_b64 s[10:11], vcc
	s_cbranch_execz .LBB52_12
; %bb.11:
	v_add_u32_e32 v4, -8, v12
	ds_read_b32 v4, v4
	s_waitcnt lgkmcnt(0)
	v_add_f32_e32 v2, v2, v4
.LBB52_12:
	s_or_b64 exec, exec, s[10:11]
.LBB52_13:
	s_or_b64 exec, exec, s[8:9]
	v_cmp_lt_u32_e64 s[8:9], 3, v0
	v_add_u32_e32 v15, -16, v11
	s_barrier
	ds_write_b32 v12, v2
	s_waitcnt lgkmcnt(0)
	s_barrier
	s_and_saveexec_b64 s[10:11], s[8:9]
	s_cbranch_execz .LBB52_17
; %bb.14:
	ds_read_b32 v4, v15
	s_waitcnt lgkmcnt(0)
	v_cmp_eq_u32_e32 vcc, v3, v4
	s_and_saveexec_b64 s[12:13], vcc
	s_cbranch_execz .LBB52_16
; %bb.15:
	v_add_u32_e32 v4, -16, v12
	ds_read_b32 v4, v4
	s_waitcnt lgkmcnt(0)
	v_add_f32_e32 v2, v2, v4
.LBB52_16:
	s_or_b64 exec, exec, s[12:13]
.LBB52_17:
	s_or_b64 exec, exec, s[10:11]
	v_cmp_lt_u32_e64 s[10:11], 7, v0
	v_subrev_u32_e32 v16, 32, v11
	s_barrier
	ds_write_b32 v12, v2
	s_waitcnt lgkmcnt(0)
	s_barrier
	s_and_saveexec_b64 s[12:13], s[10:11]
	s_cbranch_execz .LBB52_21
; %bb.18:
	ds_read_b32 v4, v16
	s_waitcnt lgkmcnt(0)
	v_cmp_eq_u32_e32 vcc, v3, v4
	s_and_saveexec_b64 s[14:15], vcc
	s_cbranch_execz .LBB52_20
; %bb.19:
	v_subrev_u32_e32 v4, 32, v12
	ds_read_b32 v4, v4
	s_waitcnt lgkmcnt(0)
	v_add_f32_e32 v2, v2, v4
.LBB52_20:
	s_or_b64 exec, exec, s[14:15]
.LBB52_21:
	s_or_b64 exec, exec, s[12:13]
	v_cmp_lt_u32_e64 s[12:13], 15, v0
	v_subrev_u32_e32 v17, 64, v11
	s_barrier
	ds_write_b32 v12, v2
	s_waitcnt lgkmcnt(0)
	s_barrier
	s_and_saveexec_b64 s[14:15], s[12:13]
	s_cbranch_execz .LBB52_25
; %bb.22:
	ds_read_b32 v4, v17
	s_waitcnt lgkmcnt(0)
	v_cmp_eq_u32_e32 vcc, v3, v4
	s_and_saveexec_b64 s[16:17], vcc
	s_cbranch_execz .LBB52_24
; %bb.23:
	v_subrev_u32_e32 v4, 64, v12
	ds_read_b32 v4, v4
	s_waitcnt lgkmcnt(0)
	v_add_f32_e32 v2, v2, v4
.LBB52_24:
	s_or_b64 exec, exec, s[16:17]
.LBB52_25:
	s_or_b64 exec, exec, s[14:15]
	v_cmp_lt_u32_e64 s[14:15], 31, v0
	s_barrier
	ds_write_b32 v12, v2
	s_waitcnt lgkmcnt(0)
	s_barrier
	s_and_saveexec_b64 s[16:17], s[14:15]
	s_cbranch_execz .LBB52_29
; %bb.26:
	v_add_u32_e32 v4, 0xffffff80, v11
	ds_read_b32 v4, v4
	s_waitcnt lgkmcnt(0)
	v_cmp_eq_u32_e32 vcc, v3, v4
	s_and_saveexec_b64 s[18:19], vcc
	s_cbranch_execz .LBB52_28
; %bb.27:
	v_add_u32_e32 v4, 0xffffff80, v12
	ds_read_b32 v4, v4
	s_waitcnt lgkmcnt(0)
	v_add_f32_e32 v2, v2, v4
.LBB52_28:
	s_or_b64 exec, exec, s[18:19]
.LBB52_29:
	s_or_b64 exec, exec, s[16:17]
	v_cmp_lt_u32_e64 s[16:17], 63, v0
	s_barrier
	ds_write_b32 v12, v2
	s_waitcnt lgkmcnt(0)
	s_barrier
	s_and_saveexec_b64 s[18:19], s[16:17]
	s_cbranch_execz .LBB52_33
; %bb.30:
	v_add_u32_e32 v4, 0xffffff00, v11
	ds_read_b32 v4, v4
	s_waitcnt lgkmcnt(0)
	v_cmp_eq_u32_e32 vcc, v3, v4
	s_and_saveexec_b64 s[20:21], vcc
	s_cbranch_execz .LBB52_32
; %bb.31:
	v_add_u32_e32 v4, 0xffffff00, v12
	ds_read_b32 v4, v4
	s_waitcnt lgkmcnt(0)
	v_add_f32_e32 v2, v2, v4
.LBB52_32:
	s_or_b64 exec, exec, s[20:21]
.LBB52_33:
	s_or_b64 exec, exec, s[18:19]
	s_load_dwordx2 s[44:45], s[4:5], 0x38
	s_movk_i32 s7, 0x7f
	v_cmp_lt_u32_e64 s[18:19], s7, v0
	s_waitcnt lgkmcnt(0)
	s_barrier
	ds_write_b32 v12, v2
	s_waitcnt lgkmcnt(0)
	s_barrier
	s_and_saveexec_b64 s[20:21], s[18:19]
	s_cbranch_execz .LBB52_37
; %bb.34:
	v_add_u32_e32 v4, 0xfffffe00, v11
	ds_read_b32 v4, v4
	s_waitcnt lgkmcnt(0)
	v_cmp_eq_u32_e32 vcc, v3, v4
	s_and_saveexec_b64 s[24:25], vcc
	s_cbranch_execz .LBB52_36
; %bb.35:
	v_add_u32_e32 v4, 0xfffffe00, v12
	ds_read_b32 v4, v4
	s_waitcnt lgkmcnt(0)
	v_add_f32_e32 v2, v2, v4
.LBB52_36:
	s_or_b64 exec, exec, s[24:25]
.LBB52_37:
	s_or_b64 exec, exec, s[20:21]
	s_movk_i32 s7, 0xff
	v_cmp_gt_u32_e64 s[20:21], s7, v0
	s_barrier
	ds_write_b32 v12, v2
	s_waitcnt lgkmcnt(0)
	s_barrier
	s_and_saveexec_b64 s[26:27], s[20:21]
	s_cbranch_execz .LBB52_40
; %bb.38:
	ds_read_b32 v4, v11 offset:4
	v_cmp_lt_i32_e64 s[24:25], -1, v3
	s_waitcnt lgkmcnt(0)
	v_cmp_ne_u32_e32 vcc, v3, v4
	s_and_b64 s[24:25], s[24:25], vcc
	s_and_b64 exec, exec, s[24:25]
	s_cbranch_execz .LBB52_40
; %bb.39:
	v_mov_b32_e32 v4, 0
	v_lshlrev_b64 v[7:8], 2, v[3:4]
	v_mov_b32_e32 v4, s45
	v_add_co_u32_e32 v7, vcc, s44, v7
	v_addc_co_u32_e32 v8, vcc, v4, v8, vcc
	global_load_dword v4, v[7:8], off
	s_waitcnt vmcnt(0)
	v_fmac_f32_e32 v4, s28, v2
	global_store_dword v[7:8], v4, off
.LBB52_40:
	s_or_b64 exec, exec, s[26:27]
	s_load_dwordx4 s[24:27], s[4:5], 0x40
	s_cmp_lt_i32 s31, 2
	s_cbranch_scc1 .LBB52_87
; %bb.41:
	s_ashr_i32 s4, s30, 31
	s_sub_u32 s5, 0, s30
	s_subb_u32 s4, 0, s4
	s_add_u32 s7, s42, s5
	s_addc_u32 s29, s43, s4
	s_movk_i32 s4, 0x400
	v_add_co_u32_e32 v2, vcc, s4, v5
	v_addc_co_u32_e32 v3, vcc, 0, v6, vcc
	v_mov_b32_e32 v4, s39
	v_add_co_u32_e32 v5, vcc, s38, v2
	v_addc_co_u32_e32 v6, vcc, v4, v3, vcc
	v_mov_b32_e32 v4, s37
	v_add_co_u32_e32 v7, vcc, s36, v2
	v_addc_co_u32_e32 v8, vcc, v4, v3, vcc
	s_movk_i32 s4, 0x100
	v_add_co_u32_e32 v9, vcc, s4, v1
	v_subrev_u32_e32 v18, 64, v12
	v_add_u32_e32 v19, 0xffffff80, v11
	v_add_u32_e32 v20, 0xffffff80, v12
	;; [unrolled: 1-line block ×6, first 2 shown]
	v_addc_co_u32_e64 v10, s[4:5], 0, 0, vcc
	s_add_i32 s31, s31, -1
	s_mov_b32 s37, 0
	v_mov_b32_e32 v4, 0
	s_branch .LBB52_43
.LBB52_42:                              ;   in Loop: Header=BB52_43 Depth=1
	s_or_b64 exec, exec, s[38:39]
	v_add_co_u32_e32 v5, vcc, 0x400, v5
	v_addc_co_u32_e32 v6, vcc, 0, v6, vcc
	v_add_co_u32_e32 v9, vcc, 0x100, v9
	v_addc_co_u32_e32 v10, vcc, 0, v10, vcc
	v_add_co_u32_e32 v7, vcc, 0x400, v7
	s_add_i32 s31, s31, -1
	s_cmp_eq_u32 s31, 0
	v_addc_co_u32_e32 v8, vcc, 0, v8, vcc
	s_cbranch_scc1 .LBB52_87
.LBB52_43:                              ; =>This Inner Loop Header: Depth=1
	v_cmp_gt_i64_e32 vcc, s[34:35], v[9:10]
	v_mov_b32_e32 v3, -1
	v_mov_b32_e32 v2, 0
	s_and_saveexec_b64 s[4:5], vcc
	s_cbranch_execz .LBB52_45
; %bb.44:                               ;   in Loop: Header=BB52_43 Depth=1
	global_load_dword v3, v[5:6], off glc slc
	v_mov_b32_e32 v2, s41
	v_add_co_u32_e32 v1, vcc, s40, v9
	v_addc_co_u32_e32 v2, vcc, v2, v10, vcc
	v_mov_b32_e32 v25, s29
	global_load_sbyte v26, v[1:2], off glc slc
	s_waitcnt vmcnt(1)
	v_ashrrev_i32_e32 v2, 31, v3
	v_add_co_u32_e32 v1, vcc, s7, v3
	v_addc_co_u32_e32 v2, vcc, v25, v2, vcc
	global_load_sbyte v3, v[1:2], off
	global_load_dword v25, v[7:8], off glc slc
	s_waitcnt vmcnt(2)
	v_cvt_f32_i32_e32 v1, v26
	s_waitcnt vmcnt(1)
	v_cvt_f32_i32_e32 v2, v3
	s_waitcnt vmcnt(0)
	v_subrev_u32_e32 v3, s30, v25
	v_mul_f32_e32 v2, v1, v2
.LBB52_45:                              ;   in Loop: Header=BB52_43 Depth=1
	s_or_b64 exec, exec, s[4:5]
	s_and_saveexec_b64 s[4:5], s[0:1]
	s_cbranch_execz .LBB52_52
; %bb.46:                               ;   in Loop: Header=BB52_43 Depth=1
	ds_read_b32 v1, v4 offset:1020
	s_waitcnt lgkmcnt(0)
	v_readfirstlane_b32 s36, v1
	v_cmp_ne_u32_e32 vcc, v3, v1
	s_and_saveexec_b64 s[38:39], vcc
	s_xor_b64 s[38:39], exec, s[38:39]
	s_cbranch_execz .LBB52_49
; %bb.47:                               ;   in Loop: Header=BB52_43 Depth=1
	s_cmp_lt_i32 s36, 0
	s_cbranch_scc1 .LBB52_49
; %bb.48:                               ;   in Loop: Header=BB52_43 Depth=1
	s_lshl_b64 s[42:43], s[36:37], 2
	s_add_u32 s42, s44, s42
	s_addc_u32 s43, s45, s43
	global_load_dword v1, v4, s[42:43]
	ds_read_b32 v25, v4 offset:2044
	s_waitcnt vmcnt(0) lgkmcnt(0)
	v_fmac_f32_e32 v1, s28, v25
	global_store_dword v4, v1, s[42:43]
.LBB52_49:                              ;   in Loop: Header=BB52_43 Depth=1
	s_andn2_saveexec_b64 s[38:39], s[38:39]
	s_cbranch_execz .LBB52_51
; %bb.50:                               ;   in Loop: Header=BB52_43 Depth=1
	ds_read_b32 v1, v4 offset:2044
	s_waitcnt lgkmcnt(0)
	v_add_f32_e32 v2, v2, v1
.LBB52_51:                              ;   in Loop: Header=BB52_43 Depth=1
	s_or_b64 exec, exec, s[38:39]
.LBB52_52:                              ;   in Loop: Header=BB52_43 Depth=1
	s_or_b64 exec, exec, s[4:5]
	s_waitcnt vmcnt(0) lgkmcnt(0)
	s_barrier
	ds_write_b32 v11, v3
	ds_write_b32 v12, v2
	s_waitcnt lgkmcnt(0)
	s_barrier
	s_and_saveexec_b64 s[4:5], s[2:3]
	s_cbranch_execz .LBB52_56
; %bb.53:                               ;   in Loop: Header=BB52_43 Depth=1
	ds_read_b32 v1, v13
	s_waitcnt lgkmcnt(0)
	v_cmp_eq_u32_e32 vcc, v3, v1
	s_and_saveexec_b64 s[38:39], vcc
	s_cbranch_execz .LBB52_55
; %bb.54:                               ;   in Loop: Header=BB52_43 Depth=1
	v_add_u32_e32 v1, -4, v12
	ds_read_b32 v1, v1
	s_waitcnt lgkmcnt(0)
	v_add_f32_e32 v2, v2, v1
.LBB52_55:                              ;   in Loop: Header=BB52_43 Depth=1
	s_or_b64 exec, exec, s[38:39]
.LBB52_56:                              ;   in Loop: Header=BB52_43 Depth=1
	s_or_b64 exec, exec, s[4:5]
	s_barrier
	ds_write_b32 v12, v2
	s_waitcnt lgkmcnt(0)
	s_barrier
	s_and_saveexec_b64 s[4:5], s[22:23]
	s_cbranch_execz .LBB52_60
; %bb.57:                               ;   in Loop: Header=BB52_43 Depth=1
	ds_read_b32 v1, v14
	s_waitcnt lgkmcnt(0)
	v_cmp_eq_u32_e32 vcc, v3, v1
	s_and_saveexec_b64 s[38:39], vcc
	s_cbranch_execz .LBB52_59
; %bb.58:                               ;   in Loop: Header=BB52_43 Depth=1
	v_add_u32_e32 v1, -8, v12
	ds_read_b32 v1, v1
	s_waitcnt lgkmcnt(0)
	v_add_f32_e32 v2, v2, v1
.LBB52_59:                              ;   in Loop: Header=BB52_43 Depth=1
	s_or_b64 exec, exec, s[38:39]
.LBB52_60:                              ;   in Loop: Header=BB52_43 Depth=1
	s_or_b64 exec, exec, s[4:5]
	s_barrier
	;; [unrolled: 21-line block ×3, first 2 shown]
	ds_write_b32 v12, v2
	s_waitcnt lgkmcnt(0)
	s_barrier
	s_and_saveexec_b64 s[4:5], s[10:11]
	s_cbranch_execz .LBB52_68
; %bb.65:                               ;   in Loop: Header=BB52_43 Depth=1
	ds_read_b32 v1, v16
	s_waitcnt lgkmcnt(0)
	v_cmp_eq_u32_e32 vcc, v3, v1
	s_and_saveexec_b64 s[38:39], vcc
	s_cbranch_execz .LBB52_67
; %bb.66:                               ;   in Loop: Header=BB52_43 Depth=1
	v_subrev_u32_e32 v1, 32, v12
	ds_read_b32 v1, v1
	s_waitcnt lgkmcnt(0)
	v_add_f32_e32 v2, v2, v1
.LBB52_67:                              ;   in Loop: Header=BB52_43 Depth=1
	s_or_b64 exec, exec, s[38:39]
.LBB52_68:                              ;   in Loop: Header=BB52_43 Depth=1
	s_or_b64 exec, exec, s[4:5]
	s_barrier
	ds_write_b32 v12, v2
	s_waitcnt lgkmcnt(0)
	s_barrier
	s_and_saveexec_b64 s[4:5], s[12:13]
	s_cbranch_execz .LBB52_72
; %bb.69:                               ;   in Loop: Header=BB52_43 Depth=1
	ds_read_b32 v1, v17
	s_waitcnt lgkmcnt(0)
	v_cmp_eq_u32_e32 vcc, v3, v1
	s_and_saveexec_b64 s[38:39], vcc
	s_cbranch_execz .LBB52_71
; %bb.70:                               ;   in Loop: Header=BB52_43 Depth=1
	ds_read_b32 v1, v18
	s_waitcnt lgkmcnt(0)
	v_add_f32_e32 v2, v2, v1
.LBB52_71:                              ;   in Loop: Header=BB52_43 Depth=1
	s_or_b64 exec, exec, s[38:39]
.LBB52_72:                              ;   in Loop: Header=BB52_43 Depth=1
	s_or_b64 exec, exec, s[4:5]
	s_barrier
	ds_write_b32 v12, v2
	s_waitcnt lgkmcnt(0)
	s_barrier
	s_and_saveexec_b64 s[4:5], s[14:15]
	s_cbranch_execz .LBB52_76
; %bb.73:                               ;   in Loop: Header=BB52_43 Depth=1
	ds_read_b32 v1, v19
	s_waitcnt lgkmcnt(0)
	v_cmp_eq_u32_e32 vcc, v3, v1
	s_and_saveexec_b64 s[38:39], vcc
	s_cbranch_execz .LBB52_75
; %bb.74:                               ;   in Loop: Header=BB52_43 Depth=1
	ds_read_b32 v1, v20
	s_waitcnt lgkmcnt(0)
	v_add_f32_e32 v2, v2, v1
.LBB52_75:                              ;   in Loop: Header=BB52_43 Depth=1
	s_or_b64 exec, exec, s[38:39]
.LBB52_76:                              ;   in Loop: Header=BB52_43 Depth=1
	;; [unrolled: 20-line block ×4, first 2 shown]
	s_or_b64 exec, exec, s[4:5]
	s_barrier
	ds_write_b32 v12, v2
	s_waitcnt lgkmcnt(0)
	s_barrier
	s_and_saveexec_b64 s[38:39], s[20:21]
	s_cbranch_execz .LBB52_42
; %bb.85:                               ;   in Loop: Header=BB52_43 Depth=1
	ds_read_b32 v1, v11 offset:4
	v_cmp_lt_i32_e64 s[4:5], -1, v3
	s_waitcnt lgkmcnt(0)
	v_cmp_ne_u32_e32 vcc, v3, v1
	s_and_b64 s[4:5], s[4:5], vcc
	s_and_b64 exec, exec, s[4:5]
	s_cbranch_execz .LBB52_42
; %bb.86:                               ;   in Loop: Header=BB52_43 Depth=1
	v_lshlrev_b64 v[25:26], 2, v[3:4]
	v_mov_b32_e32 v1, s45
	v_add_co_u32_e32 v25, vcc, s44, v25
	v_addc_co_u32_e32 v26, vcc, v1, v26, vcc
	global_load_dword v1, v[25:26], off
	s_waitcnt vmcnt(0)
	v_fmac_f32_e32 v1, s28, v2
	global_store_dword v[25:26], v1, off
	s_branch .LBB52_42
.LBB52_87:
	s_movk_i32 s0, 0xff
	v_cmp_eq_u32_e32 vcc, s0, v0
	s_and_saveexec_b64 s[0:1], vcc
	s_cbranch_execz .LBB52_89
; %bb.88:
	s_mov_b32 s7, 0
	s_lshl_b64 s[0:1], s[6:7], 2
	s_waitcnt lgkmcnt(0)
	s_add_u32 s2, s24, s0
	s_addc_u32 s3, s25, s1
	v_mov_b32_e32 v0, 0
	s_add_u32 s0, s26, s0
	v_mul_f32_e32 v1, s28, v2
	s_addc_u32 s1, s27, s1
	global_store_dword v0, v3, s[2:3] glc slc
	global_store_dword v0, v1, s[0:1] glc slc
.LBB52_89:
	s_endpgm
	.section	.rodata,"a",@progbits
	.p2align	6, 0x0
	.amdhsa_kernel _ZN9rocsparseL22coomvn_segmented_loopsILj256EiaaffEEvlT0_NS_24const_host_device_scalarIT4_EEPKS1_S6_PKT1_PKT2_PT3_PS1_PS3_21rocsparse_index_base_b
		.amdhsa_group_segment_fixed_size 2048
		.amdhsa_private_segment_fixed_size 0
		.amdhsa_kernarg_size 88
		.amdhsa_user_sgpr_count 6
		.amdhsa_user_sgpr_private_segment_buffer 1
		.amdhsa_user_sgpr_dispatch_ptr 0
		.amdhsa_user_sgpr_queue_ptr 0
		.amdhsa_user_sgpr_kernarg_segment_ptr 1
		.amdhsa_user_sgpr_dispatch_id 0
		.amdhsa_user_sgpr_flat_scratch_init 0
		.amdhsa_user_sgpr_private_segment_size 0
		.amdhsa_uses_dynamic_stack 0
		.amdhsa_system_sgpr_private_segment_wavefront_offset 0
		.amdhsa_system_sgpr_workgroup_id_x 1
		.amdhsa_system_sgpr_workgroup_id_y 0
		.amdhsa_system_sgpr_workgroup_id_z 0
		.amdhsa_system_sgpr_workgroup_info 0
		.amdhsa_system_vgpr_workitem_id 0
		.amdhsa_next_free_vgpr 27
		.amdhsa_next_free_sgpr 46
		.amdhsa_reserve_vcc 1
		.amdhsa_reserve_flat_scratch 0
		.amdhsa_float_round_mode_32 0
		.amdhsa_float_round_mode_16_64 0
		.amdhsa_float_denorm_mode_32 3
		.amdhsa_float_denorm_mode_16_64 3
		.amdhsa_dx10_clamp 1
		.amdhsa_ieee_mode 1
		.amdhsa_fp16_overflow 0
		.amdhsa_exception_fp_ieee_invalid_op 0
		.amdhsa_exception_fp_denorm_src 0
		.amdhsa_exception_fp_ieee_div_zero 0
		.amdhsa_exception_fp_ieee_overflow 0
		.amdhsa_exception_fp_ieee_underflow 0
		.amdhsa_exception_fp_ieee_inexact 0
		.amdhsa_exception_int_div_zero 0
	.end_amdhsa_kernel
	.section	.text._ZN9rocsparseL22coomvn_segmented_loopsILj256EiaaffEEvlT0_NS_24const_host_device_scalarIT4_EEPKS1_S6_PKT1_PKT2_PT3_PS1_PS3_21rocsparse_index_base_b,"axG",@progbits,_ZN9rocsparseL22coomvn_segmented_loopsILj256EiaaffEEvlT0_NS_24const_host_device_scalarIT4_EEPKS1_S6_PKT1_PKT2_PT3_PS1_PS3_21rocsparse_index_base_b,comdat
.Lfunc_end52:
	.size	_ZN9rocsparseL22coomvn_segmented_loopsILj256EiaaffEEvlT0_NS_24const_host_device_scalarIT4_EEPKS1_S6_PKT1_PKT2_PT3_PS1_PS3_21rocsparse_index_base_b, .Lfunc_end52-_ZN9rocsparseL22coomvn_segmented_loopsILj256EiaaffEEvlT0_NS_24const_host_device_scalarIT4_EEPKS1_S6_PKT1_PKT2_PT3_PS1_PS3_21rocsparse_index_base_b
                                        ; -- End function
	.set _ZN9rocsparseL22coomvn_segmented_loopsILj256EiaaffEEvlT0_NS_24const_host_device_scalarIT4_EEPKS1_S6_PKT1_PKT2_PT3_PS1_PS3_21rocsparse_index_base_b.num_vgpr, 27
	.set _ZN9rocsparseL22coomvn_segmented_loopsILj256EiaaffEEvlT0_NS_24const_host_device_scalarIT4_EEPKS1_S6_PKT1_PKT2_PT3_PS1_PS3_21rocsparse_index_base_b.num_agpr, 0
	.set _ZN9rocsparseL22coomvn_segmented_loopsILj256EiaaffEEvlT0_NS_24const_host_device_scalarIT4_EEPKS1_S6_PKT1_PKT2_PT3_PS1_PS3_21rocsparse_index_base_b.numbered_sgpr, 46
	.set _ZN9rocsparseL22coomvn_segmented_loopsILj256EiaaffEEvlT0_NS_24const_host_device_scalarIT4_EEPKS1_S6_PKT1_PKT2_PT3_PS1_PS3_21rocsparse_index_base_b.num_named_barrier, 0
	.set _ZN9rocsparseL22coomvn_segmented_loopsILj256EiaaffEEvlT0_NS_24const_host_device_scalarIT4_EEPKS1_S6_PKT1_PKT2_PT3_PS1_PS3_21rocsparse_index_base_b.private_seg_size, 0
	.set _ZN9rocsparseL22coomvn_segmented_loopsILj256EiaaffEEvlT0_NS_24const_host_device_scalarIT4_EEPKS1_S6_PKT1_PKT2_PT3_PS1_PS3_21rocsparse_index_base_b.uses_vcc, 1
	.set _ZN9rocsparseL22coomvn_segmented_loopsILj256EiaaffEEvlT0_NS_24const_host_device_scalarIT4_EEPKS1_S6_PKT1_PKT2_PT3_PS1_PS3_21rocsparse_index_base_b.uses_flat_scratch, 0
	.set _ZN9rocsparseL22coomvn_segmented_loopsILj256EiaaffEEvlT0_NS_24const_host_device_scalarIT4_EEPKS1_S6_PKT1_PKT2_PT3_PS1_PS3_21rocsparse_index_base_b.has_dyn_sized_stack, 0
	.set _ZN9rocsparseL22coomvn_segmented_loopsILj256EiaaffEEvlT0_NS_24const_host_device_scalarIT4_EEPKS1_S6_PKT1_PKT2_PT3_PS1_PS3_21rocsparse_index_base_b.has_recursion, 0
	.set _ZN9rocsparseL22coomvn_segmented_loopsILj256EiaaffEEvlT0_NS_24const_host_device_scalarIT4_EEPKS1_S6_PKT1_PKT2_PT3_PS1_PS3_21rocsparse_index_base_b.has_indirect_call, 0
	.section	.AMDGPU.csdata,"",@progbits
; Kernel info:
; codeLenInByte = 2464
; TotalNumSgprs: 50
; NumVgprs: 27
; ScratchSize: 0
; MemoryBound: 0
; FloatMode: 240
; IeeeMode: 1
; LDSByteSize: 2048 bytes/workgroup (compile time only)
; SGPRBlocks: 6
; VGPRBlocks: 6
; NumSGPRsForWavesPerEU: 50
; NumVGPRsForWavesPerEU: 27
; Occupancy: 9
; WaveLimiterHint : 1
; COMPUTE_PGM_RSRC2:SCRATCH_EN: 0
; COMPUTE_PGM_RSRC2:USER_SGPR: 6
; COMPUTE_PGM_RSRC2:TRAP_HANDLER: 0
; COMPUTE_PGM_RSRC2:TGID_X_EN: 1
; COMPUTE_PGM_RSRC2:TGID_Y_EN: 0
; COMPUTE_PGM_RSRC2:TGID_Z_EN: 0
; COMPUTE_PGM_RSRC2:TIDIG_COMP_CNT: 0
	.section	.text._ZN9rocsparseL13coomvt_kernelILj1024EiaaffEEv20rocsparse_operation_lNS_24const_host_device_scalarIT4_EEPKT0_S7_PKT1_PKT2_PT3_21rocsparse_index_base_b,"axG",@progbits,_ZN9rocsparseL13coomvt_kernelILj1024EiaaffEEv20rocsparse_operation_lNS_24const_host_device_scalarIT4_EEPKT0_S7_PKT1_PKT2_PT3_21rocsparse_index_base_b,comdat
	.globl	_ZN9rocsparseL13coomvt_kernelILj1024EiaaffEEv20rocsparse_operation_lNS_24const_host_device_scalarIT4_EEPKT0_S7_PKT1_PKT2_PT3_21rocsparse_index_base_b ; -- Begin function _ZN9rocsparseL13coomvt_kernelILj1024EiaaffEEv20rocsparse_operation_lNS_24const_host_device_scalarIT4_EEPKT0_S7_PKT1_PKT2_PT3_21rocsparse_index_base_b
	.p2align	8
	.type	_ZN9rocsparseL13coomvt_kernelILj1024EiaaffEEv20rocsparse_operation_lNS_24const_host_device_scalarIT4_EEPKT0_S7_PKT1_PKT2_PT3_21rocsparse_index_base_b,@function
_ZN9rocsparseL13coomvt_kernelILj1024EiaaffEEv20rocsparse_operation_lNS_24const_host_device_scalarIT4_EEPKT0_S7_PKT1_PKT2_PT3_21rocsparse_index_base_b: ; @_ZN9rocsparseL13coomvt_kernelILj1024EiaaffEEv20rocsparse_operation_lNS_24const_host_device_scalarIT4_EEPKT0_S7_PKT1_PKT2_PT3_21rocsparse_index_base_b
; %bb.0:
	s_load_dwordx2 s[16:17], s[4:5], 0x40
	s_load_dwordx4 s[0:3], s[4:5], 0x8
	s_waitcnt lgkmcnt(0)
	s_bitcmp1_b32 s17, 0
	s_cselect_b64 s[8:9], -1, 0
	s_and_b64 vcc, exec, s[8:9]
	s_cbranch_vccnz .LBB53_2
; %bb.1:
	s_load_dword s2, s[2:3], 0x0
.LBB53_2:
	s_waitcnt lgkmcnt(0)
	v_cmp_eq_f32_e64 s[8:9], s2, 0
	s_and_b64 vcc, exec, s[8:9]
	s_cbranch_vccnz .LBB53_6
; %bb.3:
	s_load_dword s3, s[4:5], 0x54
	v_mov_b32_e32 v1, 0
	s_waitcnt lgkmcnt(0)
	s_and_b32 s3, s3, 0xffff
	s_mul_i32 s6, s6, s3
	v_add_u32_e32 v0, s6, v0
	v_cmp_gt_i64_e32 vcc, s[0:1], v[0:1]
	s_and_saveexec_b64 s[0:1], vcc
	s_cbranch_execz .LBB53_6
; %bb.4:
	s_load_dwordx8 s[8:15], s[4:5], 0x18
	v_lshlrev_b64 v[1:2], 2, v[0:1]
	s_load_dwordx2 s[0:1], s[4:5], 0x38
	s_waitcnt lgkmcnt(0)
	v_mov_b32_e32 v4, s9
	v_add_co_u32_e32 v3, vcc, s8, v1
	v_addc_co_u32_e32 v4, vcc, v4, v2, vcc
	global_load_dword v3, v[3:4], off
	v_mov_b32_e32 v4, s11
	v_add_co_u32_e32 v1, vcc, s10, v1
	v_addc_co_u32_e32 v2, vcc, v4, v2, vcc
	global_load_dword v2, v[1:2], off
	v_mov_b32_e32 v1, s13
	v_add_co_u32_e32 v0, vcc, s12, v0
	v_addc_co_u32_e32 v1, vcc, 0, v1, vcc
	v_mov_b32_e32 v5, s15
	global_load_sbyte v6, v[0:1], off
	v_mov_b32_e32 v4, s1
	s_waitcnt vmcnt(2)
	v_subrev_u32_e32 v3, s16, v3
	v_ashrrev_i32_e32 v7, 31, v3
	s_waitcnt vmcnt(1)
	v_subrev_u32_e32 v0, s16, v2
	v_add_co_u32_e32 v2, vcc, s14, v3
	v_addc_co_u32_e32 v3, vcc, v5, v7, vcc
	v_ashrrev_i32_e32 v1, 31, v0
	global_load_sbyte v2, v[2:3], off
	v_lshlrev_b64 v[0:1], 2, v[0:1]
	v_add_co_u32_e32 v0, vcc, s0, v0
	v_addc_co_u32_e32 v1, vcc, v4, v1, vcc
	global_load_dword v3, v[0:1], off
	s_waitcnt vmcnt(2)
	v_cvt_f32_i32_e32 v4, v6
	s_mov_b64 s[0:1], 0
	v_mul_f32_e32 v4, s2, v4
	s_waitcnt vmcnt(1)
	v_cvt_f32_i32_e32 v2, v2
	v_mul_f32_e32 v4, v4, v2
.LBB53_5:                               ; =>This Inner Loop Header: Depth=1
	s_waitcnt vmcnt(0)
	v_add_f32_e32 v2, v3, v4
	global_atomic_cmpswap v2, v[0:1], v[2:3], off glc
	s_waitcnt vmcnt(0)
	v_cmp_eq_u32_e32 vcc, v2, v3
	s_or_b64 s[0:1], vcc, s[0:1]
	v_mov_b32_e32 v3, v2
	s_andn2_b64 exec, exec, s[0:1]
	s_cbranch_execnz .LBB53_5
.LBB53_6:
	s_endpgm
	.section	.rodata,"a",@progbits
	.p2align	6, 0x0
	.amdhsa_kernel _ZN9rocsparseL13coomvt_kernelILj1024EiaaffEEv20rocsparse_operation_lNS_24const_host_device_scalarIT4_EEPKT0_S7_PKT1_PKT2_PT3_21rocsparse_index_base_b
		.amdhsa_group_segment_fixed_size 0
		.amdhsa_private_segment_fixed_size 0
		.amdhsa_kernarg_size 328
		.amdhsa_user_sgpr_count 6
		.amdhsa_user_sgpr_private_segment_buffer 1
		.amdhsa_user_sgpr_dispatch_ptr 0
		.amdhsa_user_sgpr_queue_ptr 0
		.amdhsa_user_sgpr_kernarg_segment_ptr 1
		.amdhsa_user_sgpr_dispatch_id 0
		.amdhsa_user_sgpr_flat_scratch_init 0
		.amdhsa_user_sgpr_private_segment_size 0
		.amdhsa_uses_dynamic_stack 0
		.amdhsa_system_sgpr_private_segment_wavefront_offset 0
		.amdhsa_system_sgpr_workgroup_id_x 1
		.amdhsa_system_sgpr_workgroup_id_y 0
		.amdhsa_system_sgpr_workgroup_id_z 0
		.amdhsa_system_sgpr_workgroup_info 0
		.amdhsa_system_vgpr_workitem_id 0
		.amdhsa_next_free_vgpr 8
		.amdhsa_next_free_sgpr 18
		.amdhsa_reserve_vcc 1
		.amdhsa_reserve_flat_scratch 0
		.amdhsa_float_round_mode_32 0
		.amdhsa_float_round_mode_16_64 0
		.amdhsa_float_denorm_mode_32 3
		.amdhsa_float_denorm_mode_16_64 3
		.amdhsa_dx10_clamp 1
		.amdhsa_ieee_mode 1
		.amdhsa_fp16_overflow 0
		.amdhsa_exception_fp_ieee_invalid_op 0
		.amdhsa_exception_fp_denorm_src 0
		.amdhsa_exception_fp_ieee_div_zero 0
		.amdhsa_exception_fp_ieee_overflow 0
		.amdhsa_exception_fp_ieee_underflow 0
		.amdhsa_exception_fp_ieee_inexact 0
		.amdhsa_exception_int_div_zero 0
	.end_amdhsa_kernel
	.section	.text._ZN9rocsparseL13coomvt_kernelILj1024EiaaffEEv20rocsparse_operation_lNS_24const_host_device_scalarIT4_EEPKT0_S7_PKT1_PKT2_PT3_21rocsparse_index_base_b,"axG",@progbits,_ZN9rocsparseL13coomvt_kernelILj1024EiaaffEEv20rocsparse_operation_lNS_24const_host_device_scalarIT4_EEPKT0_S7_PKT1_PKT2_PT3_21rocsparse_index_base_b,comdat
.Lfunc_end53:
	.size	_ZN9rocsparseL13coomvt_kernelILj1024EiaaffEEv20rocsparse_operation_lNS_24const_host_device_scalarIT4_EEPKT0_S7_PKT1_PKT2_PT3_21rocsparse_index_base_b, .Lfunc_end53-_ZN9rocsparseL13coomvt_kernelILj1024EiaaffEEv20rocsparse_operation_lNS_24const_host_device_scalarIT4_EEPKT0_S7_PKT1_PKT2_PT3_21rocsparse_index_base_b
                                        ; -- End function
	.set _ZN9rocsparseL13coomvt_kernelILj1024EiaaffEEv20rocsparse_operation_lNS_24const_host_device_scalarIT4_EEPKT0_S7_PKT1_PKT2_PT3_21rocsparse_index_base_b.num_vgpr, 8
	.set _ZN9rocsparseL13coomvt_kernelILj1024EiaaffEEv20rocsparse_operation_lNS_24const_host_device_scalarIT4_EEPKT0_S7_PKT1_PKT2_PT3_21rocsparse_index_base_b.num_agpr, 0
	.set _ZN9rocsparseL13coomvt_kernelILj1024EiaaffEEv20rocsparse_operation_lNS_24const_host_device_scalarIT4_EEPKT0_S7_PKT1_PKT2_PT3_21rocsparse_index_base_b.numbered_sgpr, 18
	.set _ZN9rocsparseL13coomvt_kernelILj1024EiaaffEEv20rocsparse_operation_lNS_24const_host_device_scalarIT4_EEPKT0_S7_PKT1_PKT2_PT3_21rocsparse_index_base_b.num_named_barrier, 0
	.set _ZN9rocsparseL13coomvt_kernelILj1024EiaaffEEv20rocsparse_operation_lNS_24const_host_device_scalarIT4_EEPKT0_S7_PKT1_PKT2_PT3_21rocsparse_index_base_b.private_seg_size, 0
	.set _ZN9rocsparseL13coomvt_kernelILj1024EiaaffEEv20rocsparse_operation_lNS_24const_host_device_scalarIT4_EEPKT0_S7_PKT1_PKT2_PT3_21rocsparse_index_base_b.uses_vcc, 1
	.set _ZN9rocsparseL13coomvt_kernelILj1024EiaaffEEv20rocsparse_operation_lNS_24const_host_device_scalarIT4_EEPKT0_S7_PKT1_PKT2_PT3_21rocsparse_index_base_b.uses_flat_scratch, 0
	.set _ZN9rocsparseL13coomvt_kernelILj1024EiaaffEEv20rocsparse_operation_lNS_24const_host_device_scalarIT4_EEPKT0_S7_PKT1_PKT2_PT3_21rocsparse_index_base_b.has_dyn_sized_stack, 0
	.set _ZN9rocsparseL13coomvt_kernelILj1024EiaaffEEv20rocsparse_operation_lNS_24const_host_device_scalarIT4_EEPKT0_S7_PKT1_PKT2_PT3_21rocsparse_index_base_b.has_recursion, 0
	.set _ZN9rocsparseL13coomvt_kernelILj1024EiaaffEEv20rocsparse_operation_lNS_24const_host_device_scalarIT4_EEPKT0_S7_PKT1_PKT2_PT3_21rocsparse_index_base_b.has_indirect_call, 0
	.section	.AMDGPU.csdata,"",@progbits
; Kernel info:
; codeLenInByte = 340
; TotalNumSgprs: 22
; NumVgprs: 8
; ScratchSize: 0
; MemoryBound: 0
; FloatMode: 240
; IeeeMode: 1
; LDSByteSize: 0 bytes/workgroup (compile time only)
; SGPRBlocks: 2
; VGPRBlocks: 1
; NumSGPRsForWavesPerEU: 22
; NumVGPRsForWavesPerEU: 8
; Occupancy: 10
; WaveLimiterHint : 1
; COMPUTE_PGM_RSRC2:SCRATCH_EN: 0
; COMPUTE_PGM_RSRC2:USER_SGPR: 6
; COMPUTE_PGM_RSRC2:TRAP_HANDLER: 0
; COMPUTE_PGM_RSRC2:TGID_X_EN: 1
; COMPUTE_PGM_RSRC2:TGID_Y_EN: 0
; COMPUTE_PGM_RSRC2:TGID_Z_EN: 0
; COMPUTE_PGM_RSRC2:TIDIG_COMP_CNT: 0
	.section	.text._ZN9rocsparseL19coomvn_atomic_loopsILj256ELj1EiaaffEEvlNS_24const_host_device_scalarIT5_EEPKT1_S6_PKT2_PKT3_PT4_21rocsparse_index_base_b,"axG",@progbits,_ZN9rocsparseL19coomvn_atomic_loopsILj256ELj1EiaaffEEvlNS_24const_host_device_scalarIT5_EEPKT1_S6_PKT2_PKT3_PT4_21rocsparse_index_base_b,comdat
	.globl	_ZN9rocsparseL19coomvn_atomic_loopsILj256ELj1EiaaffEEvlNS_24const_host_device_scalarIT5_EEPKT1_S6_PKT2_PKT3_PT4_21rocsparse_index_base_b ; -- Begin function _ZN9rocsparseL19coomvn_atomic_loopsILj256ELj1EiaaffEEvlNS_24const_host_device_scalarIT5_EEPKT1_S6_PKT2_PKT3_PT4_21rocsparse_index_base_b
	.p2align	8
	.type	_ZN9rocsparseL19coomvn_atomic_loopsILj256ELj1EiaaffEEvlNS_24const_host_device_scalarIT5_EEPKT1_S6_PKT2_PKT3_PT4_21rocsparse_index_base_b,@function
_ZN9rocsparseL19coomvn_atomic_loopsILj256ELj1EiaaffEEvlNS_24const_host_device_scalarIT5_EEPKT1_S6_PKT2_PKT3_PT4_21rocsparse_index_base_b: ; @_ZN9rocsparseL19coomvn_atomic_loopsILj256ELj1EiaaffEEvlNS_24const_host_device_scalarIT5_EEPKT1_S6_PKT2_PKT3_PT4_21rocsparse_index_base_b
; %bb.0:
	s_load_dwordx2 s[16:17], s[4:5], 0x38
	s_load_dwordx4 s[0:3], s[4:5], 0x0
	s_waitcnt lgkmcnt(0)
	s_bitcmp1_b32 s17, 0
	s_cselect_b64 s[8:9], -1, 0
	s_and_b64 vcc, exec, s[8:9]
	s_cbranch_vccnz .LBB54_2
; %bb.1:
	s_load_dword s2, s[2:3], 0x0
.LBB54_2:
	s_waitcnt lgkmcnt(0)
	v_cmp_eq_f32_e64 s[8:9], s2, 0
	s_and_b64 vcc, exec, s[8:9]
	s_cbranch_vccnz .LBB54_44
; %bb.3:
	v_lshl_or_b32 v1, s6, 8, v0
	v_mov_b32_e32 v2, 0
	v_cmp_gt_i64_e32 vcc, s[0:1], v[1:2]
	v_mov_b32_e32 v3, -1
	s_and_saveexec_b64 s[0:1], vcc
	s_cbranch_execz .LBB54_5
; %bb.4:
	s_load_dwordx8 s[8:15], s[4:5], 0x10
	v_lshlrev_b64 v[2:3], 2, v[1:2]
	s_waitcnt lgkmcnt(0)
	v_mov_b32_e32 v5, s11
	v_add_co_u32_e32 v4, vcc, s10, v2
	v_addc_co_u32_e32 v5, vcc, v5, v3, vcc
	global_load_dword v6, v[4:5], off glc slc
	v_mov_b32_e32 v5, s13
	v_add_co_u32_e32 v4, vcc, s12, v1
	v_addc_co_u32_e32 v5, vcc, 0, v5, vcc
	v_mov_b32_e32 v8, s15
	global_load_sbyte v9, v[4:5], off glc slc
	v_mov_b32_e32 v7, s9
	s_waitcnt vmcnt(1)
	v_subrev_u32_e32 v1, s16, v6
	v_ashrrev_i32_e32 v5, 31, v1
	v_add_co_u32_e32 v4, vcc, s14, v1
	v_addc_co_u32_e32 v5, vcc, v8, v5, vcc
	global_load_sbyte v4, v[4:5], off
	v_add_co_u32_e32 v1, vcc, s8, v2
	v_addc_co_u32_e32 v2, vcc, v7, v3, vcc
	global_load_dword v1, v[1:2], off glc slc
	s_waitcnt vmcnt(2)
	v_cvt_f32_i32_e32 v2, v9
	s_waitcnt vmcnt(1)
	v_cvt_f32_i32_e32 v4, v4
	v_mul_f32_e32 v2, v2, v4
	s_waitcnt vmcnt(0)
	v_subrev_u32_e32 v3, s16, v1
.LBB54_5:
	s_or_b64 exec, exec, s[0:1]
	v_lshlrev_b32_e32 v1, 2, v0
	v_or_b32_e32 v4, 0x400, v1
	v_cmp_ne_u32_e32 vcc, 0, v0
	ds_write2st64_b32 v1, v3, v2 offset1:4
	s_waitcnt lgkmcnt(0)
	s_barrier
	s_and_saveexec_b64 s[0:1], vcc
	s_cbranch_execz .LBB54_9
; %bb.6:
	v_add_u32_e32 v5, -4, v1
	ds_read_b32 v5, v5
	s_waitcnt lgkmcnt(0)
	v_cmp_eq_u32_e32 vcc, v3, v5
	s_and_saveexec_b64 s[6:7], vcc
	s_cbranch_execz .LBB54_8
; %bb.7:
	v_add_u32_e32 v5, -4, v4
	ds_read_b32 v5, v5
	s_waitcnt lgkmcnt(0)
	v_add_f32_e32 v2, v2, v5
.LBB54_8:
	s_or_b64 exec, exec, s[6:7]
.LBB54_9:
	s_or_b64 exec, exec, s[0:1]
	v_cmp_lt_u32_e32 vcc, 1, v0
	s_barrier
	ds_write_b32 v4, v2
	s_waitcnt lgkmcnt(0)
	s_barrier
	s_and_saveexec_b64 s[0:1], vcc
	s_cbranch_execz .LBB54_13
; %bb.10:
	v_add_u32_e32 v5, -8, v1
	ds_read_b32 v5, v5
	s_waitcnt lgkmcnt(0)
	v_cmp_eq_u32_e32 vcc, v3, v5
	s_and_saveexec_b64 s[6:7], vcc
	s_cbranch_execz .LBB54_12
; %bb.11:
	v_add_u32_e32 v5, -8, v4
	ds_read_b32 v5, v5
	s_waitcnt lgkmcnt(0)
	v_add_f32_e32 v2, v2, v5
.LBB54_12:
	s_or_b64 exec, exec, s[6:7]
.LBB54_13:
	s_or_b64 exec, exec, s[0:1]
	v_cmp_lt_u32_e32 vcc, 3, v0
	s_barrier
	ds_write_b32 v4, v2
	;; [unrolled: 23-line block ×3, first 2 shown]
	s_waitcnt lgkmcnt(0)
	s_barrier
	s_and_saveexec_b64 s[0:1], vcc
	s_cbranch_execz .LBB54_21
; %bb.18:
	v_subrev_u32_e32 v5, 32, v1
	ds_read_b32 v5, v5
	s_waitcnt lgkmcnt(0)
	v_cmp_eq_u32_e32 vcc, v3, v5
	s_and_saveexec_b64 s[6:7], vcc
	s_cbranch_execz .LBB54_20
; %bb.19:
	v_subrev_u32_e32 v5, 32, v4
	ds_read_b32 v5, v5
	s_waitcnt lgkmcnt(0)
	v_add_f32_e32 v2, v2, v5
.LBB54_20:
	s_or_b64 exec, exec, s[6:7]
.LBB54_21:
	s_or_b64 exec, exec, s[0:1]
	v_cmp_lt_u32_e32 vcc, 15, v0
	s_barrier
	ds_write_b32 v4, v2
	s_waitcnt lgkmcnt(0)
	s_barrier
	s_and_saveexec_b64 s[0:1], vcc
	s_cbranch_execz .LBB54_25
; %bb.22:
	v_subrev_u32_e32 v5, 64, v1
	ds_read_b32 v5, v5
	s_waitcnt lgkmcnt(0)
	v_cmp_eq_u32_e32 vcc, v3, v5
	s_and_saveexec_b64 s[6:7], vcc
	s_cbranch_execz .LBB54_24
; %bb.23:
	v_subrev_u32_e32 v5, 64, v4
	ds_read_b32 v5, v5
	s_waitcnt lgkmcnt(0)
	v_add_f32_e32 v2, v2, v5
.LBB54_24:
	s_or_b64 exec, exec, s[6:7]
.LBB54_25:
	s_or_b64 exec, exec, s[0:1]
	v_cmp_lt_u32_e32 vcc, 31, v0
	s_barrier
	ds_write_b32 v4, v2
	s_waitcnt lgkmcnt(0)
	s_barrier
	s_and_saveexec_b64 s[0:1], vcc
	s_cbranch_execz .LBB54_29
; %bb.26:
	v_add_u32_e32 v5, 0xffffff80, v1
	ds_read_b32 v5, v5
	s_waitcnt lgkmcnt(0)
	v_cmp_eq_u32_e32 vcc, v3, v5
	s_and_saveexec_b64 s[6:7], vcc
	s_cbranch_execz .LBB54_28
; %bb.27:
	v_add_u32_e32 v5, 0xffffff80, v4
	ds_read_b32 v5, v5
	s_waitcnt lgkmcnt(0)
	v_add_f32_e32 v2, v2, v5
.LBB54_28:
	s_or_b64 exec, exec, s[6:7]
.LBB54_29:
	s_or_b64 exec, exec, s[0:1]
	v_cmp_lt_u32_e32 vcc, 63, v0
	s_barrier
	ds_write_b32 v4, v2
	s_waitcnt lgkmcnt(0)
	s_barrier
	s_and_saveexec_b64 s[0:1], vcc
	s_cbranch_execz .LBB54_33
; %bb.30:
	v_add_u32_e32 v5, 0xffffff00, v1
	ds_read_b32 v5, v5
	s_waitcnt lgkmcnt(0)
	v_cmp_eq_u32_e32 vcc, v3, v5
	s_and_saveexec_b64 s[6:7], vcc
	s_cbranch_execz .LBB54_32
; %bb.31:
	v_add_u32_e32 v5, 0xffffff00, v4
	ds_read_b32 v5, v5
	s_waitcnt lgkmcnt(0)
	v_add_f32_e32 v2, v2, v5
.LBB54_32:
	s_or_b64 exec, exec, s[6:7]
.LBB54_33:
	s_or_b64 exec, exec, s[0:1]
	s_load_dwordx2 s[4:5], s[4:5], 0x30
	s_movk_i32 s0, 0x7f
	v_cmp_lt_u32_e32 vcc, s0, v0
	s_waitcnt lgkmcnt(0)
	s_barrier
	ds_write_b32 v4, v2
	s_waitcnt lgkmcnt(0)
	s_barrier
	s_and_saveexec_b64 s[0:1], vcc
	s_cbranch_execz .LBB54_37
; %bb.34:
	v_add_u32_e32 v5, 0xfffffe00, v1
	ds_read_b32 v5, v5
	s_waitcnt lgkmcnt(0)
	v_cmp_eq_u32_e32 vcc, v3, v5
	s_and_saveexec_b64 s[6:7], vcc
	s_cbranch_execz .LBB54_36
; %bb.35:
	v_add_u32_e32 v5, 0xfffffe00, v4
	ds_read_b32 v5, v5
	s_waitcnt lgkmcnt(0)
	v_add_f32_e32 v2, v2, v5
.LBB54_36:
	s_or_b64 exec, exec, s[6:7]
.LBB54_37:
	s_or_b64 exec, exec, s[0:1]
	s_movk_i32 s3, 0xff
	v_cmp_gt_u32_e32 vcc, s3, v0
	s_barrier
	ds_write_b32 v4, v2
	s_waitcnt lgkmcnt(0)
	s_barrier
	s_and_saveexec_b64 s[6:7], vcc
	s_cbranch_execz .LBB54_41
; %bb.38:
	ds_read_b32 v1, v1 offset:4
	v_cmp_lt_i32_e64 s[0:1], -1, v3
	s_waitcnt lgkmcnt(0)
	v_cmp_ne_u32_e32 vcc, v3, v1
	s_and_b64 s[0:1], s[0:1], vcc
	s_and_b64 exec, exec, s[0:1]
	s_cbranch_execz .LBB54_41
; %bb.39:
	v_mov_b32_e32 v4, 0
	v_lshlrev_b64 v[4:5], 2, v[3:4]
	v_mov_b32_e32 v1, s5
	v_add_co_u32_e32 v4, vcc, s4, v4
	v_addc_co_u32_e32 v5, vcc, v1, v5, vcc
	global_load_dword v7, v[4:5], off
	v_mul_f32_e32 v1, s2, v2
	s_mov_b64 s[0:1], 0
.LBB54_40:                              ; =>This Inner Loop Header: Depth=1
	s_waitcnt vmcnt(0)
	v_add_f32_e32 v6, v7, v1
	global_atomic_cmpswap v6, v[4:5], v[6:7], off glc
	s_waitcnt vmcnt(0)
	v_cmp_eq_u32_e32 vcc, v6, v7
	s_or_b64 s[0:1], vcc, s[0:1]
	v_mov_b32_e32 v7, v6
	s_andn2_b64 exec, exec, s[0:1]
	s_cbranch_execnz .LBB54_40
.LBB54_41:
	s_or_b64 exec, exec, s[6:7]
	v_cmp_eq_u32_e32 vcc, s3, v0
	v_cmp_lt_i32_e64 s[0:1], -1, v3
	s_and_b64 s[0:1], vcc, s[0:1]
	s_and_saveexec_b64 s[6:7], s[0:1]
	s_cbranch_execz .LBB54_44
; %bb.42:
	v_mov_b32_e32 v4, 0
	v_lshlrev_b64 v[0:1], 2, v[3:4]
	v_mov_b32_e32 v3, s5
	v_add_co_u32_e32 v0, vcc, s4, v0
	v_addc_co_u32_e32 v1, vcc, v3, v1, vcc
	global_load_dword v3, v[0:1], off
	v_mul_f32_e32 v4, s2, v2
	s_mov_b64 s[0:1], 0
.LBB54_43:                              ; =>This Inner Loop Header: Depth=1
	s_waitcnt vmcnt(0)
	v_add_f32_e32 v2, v3, v4
	global_atomic_cmpswap v2, v[0:1], v[2:3], off glc
	s_waitcnt vmcnt(0)
	v_cmp_eq_u32_e32 vcc, v2, v3
	s_or_b64 s[0:1], vcc, s[0:1]
	v_mov_b32_e32 v3, v2
	s_andn2_b64 exec, exec, s[0:1]
	s_cbranch_execnz .LBB54_43
.LBB54_44:
	s_endpgm
	.section	.rodata,"a",@progbits
	.p2align	6, 0x0
	.amdhsa_kernel _ZN9rocsparseL19coomvn_atomic_loopsILj256ELj1EiaaffEEvlNS_24const_host_device_scalarIT5_EEPKT1_S6_PKT2_PKT3_PT4_21rocsparse_index_base_b
		.amdhsa_group_segment_fixed_size 2048
		.amdhsa_private_segment_fixed_size 0
		.amdhsa_kernarg_size 64
		.amdhsa_user_sgpr_count 6
		.amdhsa_user_sgpr_private_segment_buffer 1
		.amdhsa_user_sgpr_dispatch_ptr 0
		.amdhsa_user_sgpr_queue_ptr 0
		.amdhsa_user_sgpr_kernarg_segment_ptr 1
		.amdhsa_user_sgpr_dispatch_id 0
		.amdhsa_user_sgpr_flat_scratch_init 0
		.amdhsa_user_sgpr_private_segment_size 0
		.amdhsa_uses_dynamic_stack 0
		.amdhsa_system_sgpr_private_segment_wavefront_offset 0
		.amdhsa_system_sgpr_workgroup_id_x 1
		.amdhsa_system_sgpr_workgroup_id_y 0
		.amdhsa_system_sgpr_workgroup_id_z 0
		.amdhsa_system_sgpr_workgroup_info 0
		.amdhsa_system_vgpr_workitem_id 0
		.amdhsa_next_free_vgpr 10
		.amdhsa_next_free_sgpr 18
		.amdhsa_reserve_vcc 1
		.amdhsa_reserve_flat_scratch 0
		.amdhsa_float_round_mode_32 0
		.amdhsa_float_round_mode_16_64 0
		.amdhsa_float_denorm_mode_32 3
		.amdhsa_float_denorm_mode_16_64 3
		.amdhsa_dx10_clamp 1
		.amdhsa_ieee_mode 1
		.amdhsa_fp16_overflow 0
		.amdhsa_exception_fp_ieee_invalid_op 0
		.amdhsa_exception_fp_denorm_src 0
		.amdhsa_exception_fp_ieee_div_zero 0
		.amdhsa_exception_fp_ieee_overflow 0
		.amdhsa_exception_fp_ieee_underflow 0
		.amdhsa_exception_fp_ieee_inexact 0
		.amdhsa_exception_int_div_zero 0
	.end_amdhsa_kernel
	.section	.text._ZN9rocsparseL19coomvn_atomic_loopsILj256ELj1EiaaffEEvlNS_24const_host_device_scalarIT5_EEPKT1_S6_PKT2_PKT3_PT4_21rocsparse_index_base_b,"axG",@progbits,_ZN9rocsparseL19coomvn_atomic_loopsILj256ELj1EiaaffEEvlNS_24const_host_device_scalarIT5_EEPKT1_S6_PKT2_PKT3_PT4_21rocsparse_index_base_b,comdat
.Lfunc_end54:
	.size	_ZN9rocsparseL19coomvn_atomic_loopsILj256ELj1EiaaffEEvlNS_24const_host_device_scalarIT5_EEPKT1_S6_PKT2_PKT3_PT4_21rocsparse_index_base_b, .Lfunc_end54-_ZN9rocsparseL19coomvn_atomic_loopsILj256ELj1EiaaffEEvlNS_24const_host_device_scalarIT5_EEPKT1_S6_PKT2_PKT3_PT4_21rocsparse_index_base_b
                                        ; -- End function
	.set _ZN9rocsparseL19coomvn_atomic_loopsILj256ELj1EiaaffEEvlNS_24const_host_device_scalarIT5_EEPKT1_S6_PKT2_PKT3_PT4_21rocsparse_index_base_b.num_vgpr, 10
	.set _ZN9rocsparseL19coomvn_atomic_loopsILj256ELj1EiaaffEEvlNS_24const_host_device_scalarIT5_EEPKT1_S6_PKT2_PKT3_PT4_21rocsparse_index_base_b.num_agpr, 0
	.set _ZN9rocsparseL19coomvn_atomic_loopsILj256ELj1EiaaffEEvlNS_24const_host_device_scalarIT5_EEPKT1_S6_PKT2_PKT3_PT4_21rocsparse_index_base_b.numbered_sgpr, 18
	.set _ZN9rocsparseL19coomvn_atomic_loopsILj256ELj1EiaaffEEvlNS_24const_host_device_scalarIT5_EEPKT1_S6_PKT2_PKT3_PT4_21rocsparse_index_base_b.num_named_barrier, 0
	.set _ZN9rocsparseL19coomvn_atomic_loopsILj256ELj1EiaaffEEvlNS_24const_host_device_scalarIT5_EEPKT1_S6_PKT2_PKT3_PT4_21rocsparse_index_base_b.private_seg_size, 0
	.set _ZN9rocsparseL19coomvn_atomic_loopsILj256ELj1EiaaffEEvlNS_24const_host_device_scalarIT5_EEPKT1_S6_PKT2_PKT3_PT4_21rocsparse_index_base_b.uses_vcc, 1
	.set _ZN9rocsparseL19coomvn_atomic_loopsILj256ELj1EiaaffEEvlNS_24const_host_device_scalarIT5_EEPKT1_S6_PKT2_PKT3_PT4_21rocsparse_index_base_b.uses_flat_scratch, 0
	.set _ZN9rocsparseL19coomvn_atomic_loopsILj256ELj1EiaaffEEvlNS_24const_host_device_scalarIT5_EEPKT1_S6_PKT2_PKT3_PT4_21rocsparse_index_base_b.has_dyn_sized_stack, 0
	.set _ZN9rocsparseL19coomvn_atomic_loopsILj256ELj1EiaaffEEvlNS_24const_host_device_scalarIT5_EEPKT1_S6_PKT2_PKT3_PT4_21rocsparse_index_base_b.has_recursion, 0
	.set _ZN9rocsparseL19coomvn_atomic_loopsILj256ELj1EiaaffEEvlNS_24const_host_device_scalarIT5_EEPKT1_S6_PKT2_PKT3_PT4_21rocsparse_index_base_b.has_indirect_call, 0
	.section	.AMDGPU.csdata,"",@progbits
; Kernel info:
; codeLenInByte = 1252
; TotalNumSgprs: 22
; NumVgprs: 10
; ScratchSize: 0
; MemoryBound: 0
; FloatMode: 240
; IeeeMode: 1
; LDSByteSize: 2048 bytes/workgroup (compile time only)
; SGPRBlocks: 2
; VGPRBlocks: 2
; NumSGPRsForWavesPerEU: 22
; NumVGPRsForWavesPerEU: 10
; Occupancy: 10
; WaveLimiterHint : 1
; COMPUTE_PGM_RSRC2:SCRATCH_EN: 0
; COMPUTE_PGM_RSRC2:USER_SGPR: 6
; COMPUTE_PGM_RSRC2:TRAP_HANDLER: 0
; COMPUTE_PGM_RSRC2:TGID_X_EN: 1
; COMPUTE_PGM_RSRC2:TGID_Y_EN: 0
; COMPUTE_PGM_RSRC2:TGID_Z_EN: 0
; COMPUTE_PGM_RSRC2:TIDIG_COMP_CNT: 0
	.section	.text._ZN9rocsparseL19coomvn_atomic_loopsILj256ELj2EiaaffEEvlNS_24const_host_device_scalarIT5_EEPKT1_S6_PKT2_PKT3_PT4_21rocsparse_index_base_b,"axG",@progbits,_ZN9rocsparseL19coomvn_atomic_loopsILj256ELj2EiaaffEEvlNS_24const_host_device_scalarIT5_EEPKT1_S6_PKT2_PKT3_PT4_21rocsparse_index_base_b,comdat
	.globl	_ZN9rocsparseL19coomvn_atomic_loopsILj256ELj2EiaaffEEvlNS_24const_host_device_scalarIT5_EEPKT1_S6_PKT2_PKT3_PT4_21rocsparse_index_base_b ; -- Begin function _ZN9rocsparseL19coomvn_atomic_loopsILj256ELj2EiaaffEEvlNS_24const_host_device_scalarIT5_EEPKT1_S6_PKT2_PKT3_PT4_21rocsparse_index_base_b
	.p2align	8
	.type	_ZN9rocsparseL19coomvn_atomic_loopsILj256ELj2EiaaffEEvlNS_24const_host_device_scalarIT5_EEPKT1_S6_PKT2_PKT3_PT4_21rocsparse_index_base_b,@function
_ZN9rocsparseL19coomvn_atomic_loopsILj256ELj2EiaaffEEvlNS_24const_host_device_scalarIT5_EEPKT1_S6_PKT2_PKT3_PT4_21rocsparse_index_base_b: ; @_ZN9rocsparseL19coomvn_atomic_loopsILj256ELj2EiaaffEEvlNS_24const_host_device_scalarIT5_EEPKT1_S6_PKT2_PKT3_PT4_21rocsparse_index_base_b
; %bb.0:
	s_load_dwordx2 s[34:35], s[4:5], 0x38
	s_load_dwordx4 s[36:39], s[4:5], 0x0
	s_waitcnt lgkmcnt(0)
	s_bitcmp1_b32 s35, 0
	s_cselect_b64 s[0:1], -1, 0
	s_and_b64 vcc, exec, s[0:1]
	s_cbranch_vccnz .LBB55_2
; %bb.1:
	s_load_dword s38, s[38:39], 0x0
.LBB55_2:
	s_waitcnt lgkmcnt(0)
	v_cmp_eq_f32_e64 s[0:1], s38, 0
	s_and_b64 vcc, exec, s[0:1]
	s_cbranch_vccnz .LBB55_92
; %bb.3:
	s_load_dwordx8 s[24:31], s[4:5], 0x10
	v_lshl_or_b32 v3, s6, 9, v0
	v_mov_b32_e32 v4, 0
	v_cmp_gt_i64_e32 vcc, s[36:37], v[3:4]
	v_lshlrev_b64 v[1:2], 2, v[3:4]
	v_mov_b32_e32 v5, -1
	s_and_saveexec_b64 s[0:1], vcc
	s_cbranch_execz .LBB55_5
; %bb.4:
	s_waitcnt lgkmcnt(0)
	v_mov_b32_e32 v5, s27
	v_add_co_u32_e32 v4, vcc, s26, v1
	v_addc_co_u32_e32 v5, vcc, v5, v2, vcc
	global_load_dword v6, v[4:5], off glc slc
	v_mov_b32_e32 v5, s29
	v_add_co_u32_e32 v4, vcc, s28, v3
	v_addc_co_u32_e32 v5, vcc, 0, v5, vcc
	global_load_sbyte v9, v[4:5], off glc slc
	v_mov_b32_e32 v8, s31
	v_mov_b32_e32 v7, s25
	s_waitcnt vmcnt(1)
	v_subrev_u32_e32 v4, s34, v6
	v_ashrrev_i32_e32 v5, 31, v4
	v_add_co_u32_e32 v4, vcc, s30, v4
	v_addc_co_u32_e32 v5, vcc, v8, v5, vcc
	global_load_sbyte v6, v[4:5], off
	v_add_co_u32_e32 v4, vcc, s24, v1
	v_addc_co_u32_e32 v5, vcc, v7, v2, vcc
	global_load_dword v4, v[4:5], off glc slc
	s_waitcnt vmcnt(2)
	v_cvt_f32_i32_e32 v7, v9
	s_waitcnt vmcnt(1)
	v_cvt_f32_i32_e32 v6, v6
	s_waitcnt vmcnt(0)
	v_subrev_u32_e32 v5, s34, v4
	v_mul_f32_e32 v4, v7, v6
.LBB55_5:
	s_or_b64 exec, exec, s[0:1]
	v_lshlrev_b32_e32 v9, 2, v0
	v_or_b32_e32 v10, 0x400, v9
	v_cmp_eq_u32_e64 s[18:19], 0, v0
	v_cmp_ne_u32_e64 s[0:1], 0, v0
	v_add_u32_e32 v11, -4, v9
	ds_write2st64_b32 v9, v5, v4 offset1:4
	s_waitcnt lgkmcnt(0)
	s_barrier
	s_and_saveexec_b64 s[2:3], s[0:1]
	s_cbranch_execz .LBB55_9
; %bb.6:
	ds_read_b32 v6, v11
	s_waitcnt lgkmcnt(0)
	v_cmp_eq_u32_e32 vcc, v5, v6
	s_and_saveexec_b64 s[6:7], vcc
	s_cbranch_execz .LBB55_8
; %bb.7:
	v_add_u32_e32 v6, -4, v10
	ds_read_b32 v6, v6
	s_waitcnt lgkmcnt(0)
	v_add_f32_e32 v4, v4, v6
.LBB55_8:
	s_or_b64 exec, exec, s[6:7]
.LBB55_9:
	s_or_b64 exec, exec, s[2:3]
	v_cmp_lt_u32_e64 s[2:3], 1, v0
	v_add_u32_e32 v12, -8, v9
	s_barrier
	ds_write_b32 v10, v4
	s_waitcnt lgkmcnt(0)
	s_barrier
	s_and_saveexec_b64 s[6:7], s[2:3]
	s_cbranch_execz .LBB55_13
; %bb.10:
	ds_read_b32 v6, v12
	s_waitcnt lgkmcnt(0)
	v_cmp_eq_u32_e32 vcc, v5, v6
	s_and_saveexec_b64 s[8:9], vcc
	s_cbranch_execz .LBB55_12
; %bb.11:
	v_add_u32_e32 v6, -8, v10
	ds_read_b32 v6, v6
	s_waitcnt lgkmcnt(0)
	v_add_f32_e32 v4, v4, v6
.LBB55_12:
	s_or_b64 exec, exec, s[8:9]
.LBB55_13:
	s_or_b64 exec, exec, s[6:7]
	v_cmp_lt_u32_e64 s[20:21], 3, v0
	v_add_u32_e32 v13, -16, v9
	s_barrier
	ds_write_b32 v10, v4
	s_waitcnt lgkmcnt(0)
	s_barrier
	s_and_saveexec_b64 s[6:7], s[20:21]
	s_cbranch_execz .LBB55_17
; %bb.14:
	ds_read_b32 v6, v13
	s_waitcnt lgkmcnt(0)
	v_cmp_eq_u32_e32 vcc, v5, v6
	s_and_saveexec_b64 s[8:9], vcc
	s_cbranch_execz .LBB55_16
; %bb.15:
	v_add_u32_e32 v6, -16, v10
	ds_read_b32 v6, v6
	s_waitcnt lgkmcnt(0)
	v_add_f32_e32 v4, v4, v6
.LBB55_16:
	s_or_b64 exec, exec, s[8:9]
.LBB55_17:
	s_or_b64 exec, exec, s[6:7]
	v_cmp_lt_u32_e64 s[6:7], 7, v0
	v_subrev_u32_e32 v14, 32, v9
	s_barrier
	ds_write_b32 v10, v4
	s_waitcnt lgkmcnt(0)
	s_barrier
	s_and_saveexec_b64 s[8:9], s[6:7]
	s_cbranch_execz .LBB55_21
; %bb.18:
	ds_read_b32 v6, v14
	s_waitcnt lgkmcnt(0)
	v_cmp_eq_u32_e32 vcc, v5, v6
	s_and_saveexec_b64 s[10:11], vcc
	s_cbranch_execz .LBB55_20
; %bb.19:
	v_subrev_u32_e32 v6, 32, v10
	ds_read_b32 v6, v6
	s_waitcnt lgkmcnt(0)
	v_add_f32_e32 v4, v4, v6
.LBB55_20:
	s_or_b64 exec, exec, s[10:11]
.LBB55_21:
	s_or_b64 exec, exec, s[8:9]
	v_cmp_lt_u32_e64 s[8:9], 15, v0
	v_subrev_u32_e32 v15, 64, v9
	s_barrier
	ds_write_b32 v10, v4
	s_waitcnt lgkmcnt(0)
	s_barrier
	s_and_saveexec_b64 s[10:11], s[8:9]
	s_cbranch_execz .LBB55_25
; %bb.22:
	ds_read_b32 v6, v15
	s_waitcnt lgkmcnt(0)
	v_cmp_eq_u32_e32 vcc, v5, v6
	s_and_saveexec_b64 s[12:13], vcc
	s_cbranch_execz .LBB55_24
; %bb.23:
	v_subrev_u32_e32 v6, 64, v10
	ds_read_b32 v6, v6
	s_waitcnt lgkmcnt(0)
	v_add_f32_e32 v4, v4, v6
.LBB55_24:
	s_or_b64 exec, exec, s[12:13]
.LBB55_25:
	s_or_b64 exec, exec, s[10:11]
	v_cmp_lt_u32_e64 s[10:11], 31, v0
	s_barrier
	ds_write_b32 v10, v4
	s_waitcnt lgkmcnt(0)
	s_barrier
	s_and_saveexec_b64 s[12:13], s[10:11]
	s_cbranch_execz .LBB55_29
; %bb.26:
	v_add_u32_e32 v6, 0xffffff80, v9
	ds_read_b32 v6, v6
	s_waitcnt lgkmcnt(0)
	v_cmp_eq_u32_e32 vcc, v5, v6
	s_and_saveexec_b64 s[14:15], vcc
	s_cbranch_execz .LBB55_28
; %bb.27:
	v_add_u32_e32 v6, 0xffffff80, v10
	ds_read_b32 v6, v6
	s_waitcnt lgkmcnt(0)
	v_add_f32_e32 v4, v4, v6
.LBB55_28:
	s_or_b64 exec, exec, s[14:15]
.LBB55_29:
	s_or_b64 exec, exec, s[12:13]
	v_cmp_lt_u32_e64 s[12:13], 63, v0
	s_barrier
	ds_write_b32 v10, v4
	s_waitcnt lgkmcnt(0)
	s_barrier
	s_and_saveexec_b64 s[14:15], s[12:13]
	s_cbranch_execz .LBB55_33
; %bb.30:
	v_add_u32_e32 v6, 0xffffff00, v9
	ds_read_b32 v6, v6
	s_waitcnt lgkmcnt(0)
	v_cmp_eq_u32_e32 vcc, v5, v6
	s_and_saveexec_b64 s[16:17], vcc
	s_cbranch_execz .LBB55_32
; %bb.31:
	v_add_u32_e32 v6, 0xffffff00, v10
	ds_read_b32 v6, v6
	s_waitcnt lgkmcnt(0)
	v_add_f32_e32 v4, v4, v6
.LBB55_32:
	s_or_b64 exec, exec, s[16:17]
.LBB55_33:
	s_or_b64 exec, exec, s[14:15]
	s_load_dwordx2 s[22:23], s[4:5], 0x30
	s_movk_i32 s4, 0x7f
	v_cmp_lt_u32_e64 s[14:15], s4, v0
	s_waitcnt lgkmcnt(0)
	s_barrier
	ds_write_b32 v10, v4
	s_waitcnt lgkmcnt(0)
	s_barrier
	s_and_saveexec_b64 s[4:5], s[14:15]
	s_cbranch_execz .LBB55_37
; %bb.34:
	v_add_u32_e32 v6, 0xfffffe00, v9
	ds_read_b32 v6, v6
	s_waitcnt lgkmcnt(0)
	v_cmp_eq_u32_e32 vcc, v5, v6
	s_and_saveexec_b64 s[16:17], vcc
	s_cbranch_execz .LBB55_36
; %bb.35:
	v_add_u32_e32 v6, 0xfffffe00, v10
	ds_read_b32 v6, v6
	s_waitcnt lgkmcnt(0)
	v_add_f32_e32 v4, v4, v6
.LBB55_36:
	s_or_b64 exec, exec, s[16:17]
.LBB55_37:
	s_or_b64 exec, exec, s[4:5]
	s_movk_i32 s4, 0xff
	v_cmp_gt_u32_e64 s[16:17], s4, v0
	s_barrier
	ds_write_b32 v10, v4
	s_waitcnt lgkmcnt(0)
	s_barrier
	s_and_saveexec_b64 s[40:41], s[16:17]
	s_cbranch_execz .LBB55_41
; %bb.38:
	ds_read_b32 v6, v9 offset:4
	v_cmp_lt_i32_e64 s[4:5], -1, v5
	s_waitcnt lgkmcnt(0)
	v_cmp_ne_u32_e32 vcc, v5, v6
	s_and_b64 s[4:5], s[4:5], vcc
	s_and_b64 exec, exec, s[4:5]
	s_cbranch_execz .LBB55_41
; %bb.39:
	v_mov_b32_e32 v6, 0
	v_lshlrev_b64 v[5:6], 2, v[5:6]
	v_mov_b32_e32 v7, s23
	v_add_co_u32_e32 v5, vcc, s22, v5
	v_addc_co_u32_e32 v6, vcc, v7, v6, vcc
	global_load_dword v8, v[5:6], off
	v_mul_f32_e32 v4, s38, v4
	s_mov_b64 s[4:5], 0
.LBB55_40:                              ; =>This Inner Loop Header: Depth=1
	s_waitcnt vmcnt(0)
	v_add_f32_e32 v7, v8, v4
	global_atomic_cmpswap v7, v[5:6], v[7:8], off glc
	s_waitcnt vmcnt(0)
	v_cmp_eq_u32_e32 vcc, v7, v8
	s_or_b64 s[4:5], vcc, s[4:5]
	v_mov_b32_e32 v8, v7
	s_andn2_b64 exec, exec, s[4:5]
	s_cbranch_execnz .LBB55_40
.LBB55_41:
	s_or_b64 exec, exec, s[40:41]
	v_add_co_u32_e32 v4, vcc, 0x100, v3
	v_addc_co_u32_e64 v5, s[4:5], 0, 0, vcc
	v_cmp_gt_i64_e32 vcc, s[36:37], v[4:5]
	v_mov_b32_e32 v4, -1
	v_mov_b32_e32 v7, 0
	s_and_saveexec_b64 s[4:5], vcc
	s_cbranch_execz .LBB55_43
; %bb.42:
	v_mov_b32_e32 v5, s27
	v_add_co_u32_e32 v4, vcc, s26, v1
	v_addc_co_u32_e32 v5, vcc, v5, v2, vcc
	global_load_dword v5, v[4:5], off offset:1024 glc slc
	v_mov_b32_e32 v4, s29
	v_add_co_u32_e32 v3, vcc, s28, v3
	v_addc_co_u32_e32 v4, vcc, 0, v4, vcc
	global_load_sbyte v8, v[3:4], off offset:256 glc slc
	v_mov_b32_e32 v7, s31
	v_mov_b32_e32 v6, s25
	s_waitcnt vmcnt(1)
	v_subrev_u32_e32 v3, s34, v5
	v_ashrrev_i32_e32 v4, 31, v3
	v_add_co_u32_e32 v3, vcc, s30, v3
	v_addc_co_u32_e32 v4, vcc, v7, v4, vcc
	global_load_sbyte v3, v[3:4], off
	v_add_co_u32_e32 v1, vcc, s24, v1
	v_addc_co_u32_e32 v2, vcc, v6, v2, vcc
	global_load_dword v1, v[1:2], off offset:1024 glc slc
	s_waitcnt vmcnt(2)
	v_cvt_f32_i32_e32 v2, v8
	s_waitcnt vmcnt(1)
	v_cvt_f32_i32_e32 v3, v3
	v_mul_f32_e32 v7, v2, v3
	s_waitcnt vmcnt(0)
	v_subrev_u32_e32 v4, s34, v1
.LBB55_43:
	s_or_b64 exec, exec, s[4:5]
	s_and_saveexec_b64 s[4:5], s[18:19]
	s_cbranch_execz .LBB55_53
; %bb.44:
	v_mov_b32_e32 v1, 0
	ds_read_b32 v1, v1 offset:1020
	s_waitcnt lgkmcnt(0)
	v_readfirstlane_b32 s26, v1
	v_cmp_ne_u32_e32 vcc, v4, v1
	s_and_saveexec_b64 s[18:19], vcc
	s_xor_b64 s[18:19], exec, s[18:19]
	s_cbranch_execz .LBB55_50
; %bb.45:
	s_cmp_lt_i32 s26, 0
	s_cbranch_scc1 .LBB55_50
; %bb.46:
	s_mov_b64 s[28:29], exec
	v_mbcnt_lo_u32_b32 v1, s28, 0
	v_mbcnt_hi_u32_b32 v1, s29, v1
	v_cmp_eq_u32_e32 vcc, 0, v1
	s_and_saveexec_b64 s[24:25], vcc
	s_cbranch_execz .LBB55_49
; %bb.47:
	s_mov_b32 s27, 0
	s_lshl_b64 s[26:27], s[26:27], 2
	s_add_u32 s26, s22, s26
	s_addc_u32 s27, s23, s27
	v_mov_b32_e32 v3, 0
	global_load_dword v2, v3, s[26:27]
	ds_read_b32 v1, v3 offset:2044
	s_bcnt1_i32_b64 s28, s[28:29]
	v_cvt_f32_ubyte0_e32 v5, s28
	s_mov_b64 s[28:29], 0
	s_waitcnt lgkmcnt(0)
	v_mul_f32_e32 v1, s38, v1
	v_mul_f32_e32 v5, v1, v5
.LBB55_48:                              ; =>This Inner Loop Header: Depth=1
	s_waitcnt vmcnt(0)
	v_add_f32_e32 v1, v2, v5
	global_atomic_cmpswap v1, v3, v[1:2], s[26:27] glc
	s_waitcnt vmcnt(0)
	v_cmp_eq_u32_e32 vcc, v1, v2
	s_or_b64 s[28:29], vcc, s[28:29]
	v_mov_b32_e32 v2, v1
	s_andn2_b64 exec, exec, s[28:29]
	s_cbranch_execnz .LBB55_48
.LBB55_49:
	s_or_b64 exec, exec, s[24:25]
.LBB55_50:
	s_andn2_saveexec_b64 s[18:19], s[18:19]
	s_cbranch_execz .LBB55_52
; %bb.51:
	v_mov_b32_e32 v1, 0
	ds_read_b32 v1, v1 offset:2044
	s_waitcnt lgkmcnt(0)
	v_add_f32_e32 v7, v7, v1
.LBB55_52:
	s_or_b64 exec, exec, s[18:19]
.LBB55_53:
	s_or_b64 exec, exec, s[4:5]
	s_barrier
	ds_write_b32 v9, v4
	ds_write_b32 v10, v7
	s_waitcnt lgkmcnt(0)
	s_barrier
	s_and_saveexec_b64 s[4:5], s[0:1]
	s_cbranch_execz .LBB55_57
; %bb.54:
	ds_read_b32 v1, v11
	s_waitcnt lgkmcnt(0)
	v_cmp_eq_u32_e32 vcc, v4, v1
	s_and_saveexec_b64 s[0:1], vcc
	s_cbranch_execz .LBB55_56
; %bb.55:
	v_add_u32_e32 v1, -4, v10
	ds_read_b32 v1, v1
	s_waitcnt lgkmcnt(0)
	v_add_f32_e32 v7, v7, v1
.LBB55_56:
	s_or_b64 exec, exec, s[0:1]
.LBB55_57:
	s_or_b64 exec, exec, s[4:5]
	s_barrier
	ds_write_b32 v10, v7
	s_waitcnt lgkmcnt(0)
	s_barrier
	s_and_saveexec_b64 s[0:1], s[2:3]
	s_cbranch_execz .LBB55_61
; %bb.58:
	ds_read_b32 v1, v12
	s_waitcnt lgkmcnt(0)
	v_cmp_eq_u32_e32 vcc, v4, v1
	s_and_saveexec_b64 s[2:3], vcc
	s_cbranch_execz .LBB55_60
; %bb.59:
	v_add_u32_e32 v1, -8, v10
	ds_read_b32 v1, v1
	s_waitcnt lgkmcnt(0)
	v_add_f32_e32 v7, v7, v1
.LBB55_60:
	s_or_b64 exec, exec, s[2:3]
.LBB55_61:
	s_or_b64 exec, exec, s[0:1]
	s_barrier
	;; [unrolled: 21-line block ×3, first 2 shown]
	ds_write_b32 v10, v7
	s_waitcnt lgkmcnt(0)
	s_barrier
	s_and_saveexec_b64 s[0:1], s[6:7]
	s_cbranch_execz .LBB55_69
; %bb.66:
	ds_read_b32 v1, v14
	s_waitcnt lgkmcnt(0)
	v_cmp_eq_u32_e32 vcc, v4, v1
	s_and_saveexec_b64 s[2:3], vcc
	s_cbranch_execz .LBB55_68
; %bb.67:
	v_subrev_u32_e32 v1, 32, v10
	ds_read_b32 v1, v1
	s_waitcnt lgkmcnt(0)
	v_add_f32_e32 v7, v7, v1
.LBB55_68:
	s_or_b64 exec, exec, s[2:3]
.LBB55_69:
	s_or_b64 exec, exec, s[0:1]
	s_barrier
	ds_write_b32 v10, v7
	s_waitcnt lgkmcnt(0)
	s_barrier
	s_and_saveexec_b64 s[0:1], s[8:9]
	s_cbranch_execz .LBB55_73
; %bb.70:
	ds_read_b32 v1, v15
	s_waitcnt lgkmcnt(0)
	v_cmp_eq_u32_e32 vcc, v4, v1
	s_and_saveexec_b64 s[2:3], vcc
	s_cbranch_execz .LBB55_72
; %bb.71:
	v_subrev_u32_e32 v1, 64, v10
	ds_read_b32 v1, v1
	s_waitcnt lgkmcnt(0)
	v_add_f32_e32 v7, v7, v1
.LBB55_72:
	s_or_b64 exec, exec, s[2:3]
.LBB55_73:
	s_or_b64 exec, exec, s[0:1]
	s_barrier
	ds_write_b32 v10, v7
	s_waitcnt lgkmcnt(0)
	s_barrier
	s_and_saveexec_b64 s[0:1], s[10:11]
	s_cbranch_execz .LBB55_77
; %bb.74:
	v_add_u32_e32 v1, 0xffffff80, v9
	ds_read_b32 v1, v1
	s_waitcnt lgkmcnt(0)
	v_cmp_eq_u32_e32 vcc, v4, v1
	s_and_saveexec_b64 s[2:3], vcc
	s_cbranch_execz .LBB55_76
; %bb.75:
	v_add_u32_e32 v1, 0xffffff80, v10
	ds_read_b32 v1, v1
	s_waitcnt lgkmcnt(0)
	v_add_f32_e32 v7, v7, v1
.LBB55_76:
	s_or_b64 exec, exec, s[2:3]
.LBB55_77:
	s_or_b64 exec, exec, s[0:1]
	s_barrier
	ds_write_b32 v10, v7
	s_waitcnt lgkmcnt(0)
	s_barrier
	s_and_saveexec_b64 s[0:1], s[12:13]
	s_cbranch_execz .LBB55_81
; %bb.78:
	v_add_u32_e32 v1, 0xffffff00, v9
	ds_read_b32 v1, v1
	s_waitcnt lgkmcnt(0)
	v_cmp_eq_u32_e32 vcc, v4, v1
	s_and_saveexec_b64 s[2:3], vcc
	s_cbranch_execz .LBB55_80
; %bb.79:
	v_add_u32_e32 v1, 0xffffff00, v10
	ds_read_b32 v1, v1
	s_waitcnt lgkmcnt(0)
	v_add_f32_e32 v7, v7, v1
.LBB55_80:
	s_or_b64 exec, exec, s[2:3]
.LBB55_81:
	;; [unrolled: 22-line block ×3, first 2 shown]
	s_or_b64 exec, exec, s[0:1]
	s_barrier
	ds_write_b32 v10, v7
	s_waitcnt lgkmcnt(0)
	s_barrier
	s_and_saveexec_b64 s[2:3], s[16:17]
	s_cbranch_execz .LBB55_89
; %bb.86:
	ds_read_b32 v1, v9 offset:4
	v_cmp_lt_i32_e64 s[0:1], -1, v4
	s_waitcnt lgkmcnt(0)
	v_cmp_ne_u32_e32 vcc, v4, v1
	s_and_b64 s[0:1], s[0:1], vcc
	s_and_b64 exec, exec, s[0:1]
	s_cbranch_execz .LBB55_89
; %bb.87:
	v_mov_b32_e32 v5, 0
	v_lshlrev_b64 v[1:2], 2, v[4:5]
	v_mov_b32_e32 v3, s23
	v_add_co_u32_e32 v1, vcc, s22, v1
	v_addc_co_u32_e32 v2, vcc, v3, v2, vcc
	global_load_dword v6, v[1:2], off
	v_mul_f32_e32 v3, s38, v7
	s_mov_b64 s[0:1], 0
.LBB55_88:                              ; =>This Inner Loop Header: Depth=1
	s_waitcnt vmcnt(0)
	v_add_f32_e32 v5, v6, v3
	global_atomic_cmpswap v5, v[1:2], v[5:6], off glc
	s_waitcnt vmcnt(0)
	v_cmp_eq_u32_e32 vcc, v5, v6
	s_or_b64 s[0:1], vcc, s[0:1]
	v_mov_b32_e32 v6, v5
	s_andn2_b64 exec, exec, s[0:1]
	s_cbranch_execnz .LBB55_88
.LBB55_89:
	s_or_b64 exec, exec, s[2:3]
	s_movk_i32 s0, 0xff
	v_cmp_eq_u32_e32 vcc, s0, v0
	v_cmp_lt_i32_e64 s[0:1], -1, v4
	s_and_b64 s[0:1], vcc, s[0:1]
	s_and_saveexec_b64 s[2:3], s[0:1]
	s_cbranch_execz .LBB55_92
; %bb.90:
	v_mov_b32_e32 v5, 0
	v_lshlrev_b64 v[0:1], 2, v[4:5]
	v_mov_b32_e32 v2, s23
	v_add_co_u32_e32 v0, vcc, s22, v0
	v_addc_co_u32_e32 v1, vcc, v2, v1, vcc
	global_load_dword v3, v[0:1], off
	v_mul_f32_e32 v4, s38, v7
	s_mov_b64 s[0:1], 0
.LBB55_91:                              ; =>This Inner Loop Header: Depth=1
	s_waitcnt vmcnt(0)
	v_add_f32_e32 v2, v3, v4
	global_atomic_cmpswap v2, v[0:1], v[2:3], off glc
	s_waitcnt vmcnt(0)
	v_cmp_eq_u32_e32 vcc, v2, v3
	s_or_b64 s[0:1], vcc, s[0:1]
	v_mov_b32_e32 v3, v2
	s_andn2_b64 exec, exec, s[0:1]
	s_cbranch_execnz .LBB55_91
.LBB55_92:
	s_endpgm
	.section	.rodata,"a",@progbits
	.p2align	6, 0x0
	.amdhsa_kernel _ZN9rocsparseL19coomvn_atomic_loopsILj256ELj2EiaaffEEvlNS_24const_host_device_scalarIT5_EEPKT1_S6_PKT2_PKT3_PT4_21rocsparse_index_base_b
		.amdhsa_group_segment_fixed_size 2048
		.amdhsa_private_segment_fixed_size 0
		.amdhsa_kernarg_size 64
		.amdhsa_user_sgpr_count 6
		.amdhsa_user_sgpr_private_segment_buffer 1
		.amdhsa_user_sgpr_dispatch_ptr 0
		.amdhsa_user_sgpr_queue_ptr 0
		.amdhsa_user_sgpr_kernarg_segment_ptr 1
		.amdhsa_user_sgpr_dispatch_id 0
		.amdhsa_user_sgpr_flat_scratch_init 0
		.amdhsa_user_sgpr_private_segment_size 0
		.amdhsa_uses_dynamic_stack 0
		.amdhsa_system_sgpr_private_segment_wavefront_offset 0
		.amdhsa_system_sgpr_workgroup_id_x 1
		.amdhsa_system_sgpr_workgroup_id_y 0
		.amdhsa_system_sgpr_workgroup_id_z 0
		.amdhsa_system_sgpr_workgroup_info 0
		.amdhsa_system_vgpr_workitem_id 0
		.amdhsa_next_free_vgpr 16
		.amdhsa_next_free_sgpr 42
		.amdhsa_reserve_vcc 1
		.amdhsa_reserve_flat_scratch 0
		.amdhsa_float_round_mode_32 0
		.amdhsa_float_round_mode_16_64 0
		.amdhsa_float_denorm_mode_32 3
		.amdhsa_float_denorm_mode_16_64 3
		.amdhsa_dx10_clamp 1
		.amdhsa_ieee_mode 1
		.amdhsa_fp16_overflow 0
		.amdhsa_exception_fp_ieee_invalid_op 0
		.amdhsa_exception_fp_denorm_src 0
		.amdhsa_exception_fp_ieee_div_zero 0
		.amdhsa_exception_fp_ieee_overflow 0
		.amdhsa_exception_fp_ieee_underflow 0
		.amdhsa_exception_fp_ieee_inexact 0
		.amdhsa_exception_int_div_zero 0
	.end_amdhsa_kernel
	.section	.text._ZN9rocsparseL19coomvn_atomic_loopsILj256ELj2EiaaffEEvlNS_24const_host_device_scalarIT5_EEPKT1_S6_PKT2_PKT3_PT4_21rocsparse_index_base_b,"axG",@progbits,_ZN9rocsparseL19coomvn_atomic_loopsILj256ELj2EiaaffEEvlNS_24const_host_device_scalarIT5_EEPKT1_S6_PKT2_PKT3_PT4_21rocsparse_index_base_b,comdat
.Lfunc_end55:
	.size	_ZN9rocsparseL19coomvn_atomic_loopsILj256ELj2EiaaffEEvlNS_24const_host_device_scalarIT5_EEPKT1_S6_PKT2_PKT3_PT4_21rocsparse_index_base_b, .Lfunc_end55-_ZN9rocsparseL19coomvn_atomic_loopsILj256ELj2EiaaffEEvlNS_24const_host_device_scalarIT5_EEPKT1_S6_PKT2_PKT3_PT4_21rocsparse_index_base_b
                                        ; -- End function
	.set _ZN9rocsparseL19coomvn_atomic_loopsILj256ELj2EiaaffEEvlNS_24const_host_device_scalarIT5_EEPKT1_S6_PKT2_PKT3_PT4_21rocsparse_index_base_b.num_vgpr, 16
	.set _ZN9rocsparseL19coomvn_atomic_loopsILj256ELj2EiaaffEEvlNS_24const_host_device_scalarIT5_EEPKT1_S6_PKT2_PKT3_PT4_21rocsparse_index_base_b.num_agpr, 0
	.set _ZN9rocsparseL19coomvn_atomic_loopsILj256ELj2EiaaffEEvlNS_24const_host_device_scalarIT5_EEPKT1_S6_PKT2_PKT3_PT4_21rocsparse_index_base_b.numbered_sgpr, 42
	.set _ZN9rocsparseL19coomvn_atomic_loopsILj256ELj2EiaaffEEvlNS_24const_host_device_scalarIT5_EEPKT1_S6_PKT2_PKT3_PT4_21rocsparse_index_base_b.num_named_barrier, 0
	.set _ZN9rocsparseL19coomvn_atomic_loopsILj256ELj2EiaaffEEvlNS_24const_host_device_scalarIT5_EEPKT1_S6_PKT2_PKT3_PT4_21rocsparse_index_base_b.private_seg_size, 0
	.set _ZN9rocsparseL19coomvn_atomic_loopsILj256ELj2EiaaffEEvlNS_24const_host_device_scalarIT5_EEPKT1_S6_PKT2_PKT3_PT4_21rocsparse_index_base_b.uses_vcc, 1
	.set _ZN9rocsparseL19coomvn_atomic_loopsILj256ELj2EiaaffEEvlNS_24const_host_device_scalarIT5_EEPKT1_S6_PKT2_PKT3_PT4_21rocsparse_index_base_b.uses_flat_scratch, 0
	.set _ZN9rocsparseL19coomvn_atomic_loopsILj256ELj2EiaaffEEvlNS_24const_host_device_scalarIT5_EEPKT1_S6_PKT2_PKT3_PT4_21rocsparse_index_base_b.has_dyn_sized_stack, 0
	.set _ZN9rocsparseL19coomvn_atomic_loopsILj256ELj2EiaaffEEvlNS_24const_host_device_scalarIT5_EEPKT1_S6_PKT2_PKT3_PT4_21rocsparse_index_base_b.has_recursion, 0
	.set _ZN9rocsparseL19coomvn_atomic_loopsILj256ELj2EiaaffEEvlNS_24const_host_device_scalarIT5_EEPKT1_S6_PKT2_PKT3_PT4_21rocsparse_index_base_b.has_indirect_call, 0
	.section	.AMDGPU.csdata,"",@progbits
; Kernel info:
; codeLenInByte = 2516
; TotalNumSgprs: 46
; NumVgprs: 16
; ScratchSize: 0
; MemoryBound: 0
; FloatMode: 240
; IeeeMode: 1
; LDSByteSize: 2048 bytes/workgroup (compile time only)
; SGPRBlocks: 5
; VGPRBlocks: 3
; NumSGPRsForWavesPerEU: 46
; NumVGPRsForWavesPerEU: 16
; Occupancy: 10
; WaveLimiterHint : 1
; COMPUTE_PGM_RSRC2:SCRATCH_EN: 0
; COMPUTE_PGM_RSRC2:USER_SGPR: 6
; COMPUTE_PGM_RSRC2:TRAP_HANDLER: 0
; COMPUTE_PGM_RSRC2:TGID_X_EN: 1
; COMPUTE_PGM_RSRC2:TGID_Y_EN: 0
; COMPUTE_PGM_RSRC2:TGID_Z_EN: 0
; COMPUTE_PGM_RSRC2:TIDIG_COMP_CNT: 0
	.section	.text._ZN9rocsparseL22coomvn_segmented_loopsILj256ElaaffEEvlT0_NS_24const_host_device_scalarIT4_EEPKS1_S6_PKT1_PKT2_PT3_PS1_PS3_21rocsparse_index_base_b,"axG",@progbits,_ZN9rocsparseL22coomvn_segmented_loopsILj256ElaaffEEvlT0_NS_24const_host_device_scalarIT4_EEPKS1_S6_PKT1_PKT2_PT3_PS1_PS3_21rocsparse_index_base_b,comdat
	.globl	_ZN9rocsparseL22coomvn_segmented_loopsILj256ElaaffEEvlT0_NS_24const_host_device_scalarIT4_EEPKS1_S6_PKT1_PKT2_PT3_PS1_PS3_21rocsparse_index_base_b ; -- Begin function _ZN9rocsparseL22coomvn_segmented_loopsILj256ElaaffEEvlT0_NS_24const_host_device_scalarIT4_EEPKS1_S6_PKT1_PKT2_PT3_PS1_PS3_21rocsparse_index_base_b
	.p2align	8
	.type	_ZN9rocsparseL22coomvn_segmented_loopsILj256ElaaffEEvlT0_NS_24const_host_device_scalarIT4_EEPKS1_S6_PKT1_PKT2_PT3_PS1_PS3_21rocsparse_index_base_b,@function
_ZN9rocsparseL22coomvn_segmented_loopsILj256ElaaffEEvlT0_NS_24const_host_device_scalarIT4_EEPKS1_S6_PKT1_PKT2_PT3_PS1_PS3_21rocsparse_index_base_b: ; @_ZN9rocsparseL22coomvn_segmented_loopsILj256ElaaffEEvlT0_NS_24const_host_device_scalarIT4_EEPKS1_S6_PKT1_PKT2_PT3_PS1_PS3_21rocsparse_index_base_b
; %bb.0:
	s_load_dwordx2 s[44:45], s[4:5], 0x50
	s_load_dwordx2 s[34:35], s[4:5], 0x10
	s_waitcnt lgkmcnt(0)
	s_bitcmp1_b32 s45, 0
	s_cselect_b64 s[0:1], -1, 0
	s_and_b64 vcc, exec, s[0:1]
	s_cbranch_vccnz .LBB56_2
; %bb.1:
	s_load_dword s34, s[34:35], 0x0
.LBB56_2:
	s_waitcnt lgkmcnt(0)
	v_cmp_eq_f32_e64 s[0:1], s34, 0
	s_mov_b32 s7, 0
	s_and_b64 vcc, exec, s[0:1]
	s_cbranch_vccnz .LBB56_89
; %bb.3:
	s_load_dwordx4 s[28:31], s[4:5], 0x0
	s_load_dwordx8 s[36:43], s[4:5], 0x18
	v_mov_b32_e32 v1, -1
	v_mov_b32_e32 v2, -1
	v_mov_b32_e32 v15, 0
	s_waitcnt lgkmcnt(0)
	s_mul_i32 s1, s6, s31
	s_mul_hi_u32 s2, s6, s30
	s_mul_i32 s0, s6, s30
	s_add_i32 s1, s2, s1
	s_lshl_b64 s[0:1], s[0:1], 8
	v_or_b32_e32 v5, s0, v0
	v_mov_b32_e32 v6, s1
	v_cmp_gt_i64_e32 vcc, s[28:29], v[5:6]
	s_and_saveexec_b64 s[0:1], vcc
	s_cbranch_execz .LBB56_5
; %bb.4:
	v_lshlrev_b64 v[1:2], 3, v[5:6]
	v_mov_b32_e32 v4, s39
	v_add_co_u32_e32 v3, vcc, s38, v1
	v_addc_co_u32_e32 v4, vcc, v4, v2, vcc
	global_load_dwordx2 v[3:4], v[3:4], off glc slc
	v_mov_b32_e32 v8, s41
	v_add_co_u32_e32 v7, vcc, s40, v5
	s_ashr_i32 s2, s44, 31
	v_addc_co_u32_e32 v8, vcc, v8, v6, vcc
	v_mov_b32_e32 v10, s43
	s_sub_u32 s3, 0, s44
	s_subb_u32 s2, 0, s2
	global_load_sbyte v7, v[7:8], off glc slc
	v_mov_b32_e32 v8, s2
	v_mov_b32_e32 v9, s37
	s_waitcnt vmcnt(1)
	v_add_co_u32_e32 v3, vcc, s42, v3
	v_addc_co_u32_e32 v4, vcc, v10, v4, vcc
	v_add_co_u32_e32 v3, vcc, s3, v3
	v_addc_co_u32_e32 v4, vcc, v4, v8, vcc
	global_load_sbyte v3, v[3:4], off
	v_add_co_u32_e32 v1, vcc, s36, v1
	v_addc_co_u32_e32 v2, vcc, v9, v2, vcc
	global_load_dwordx2 v[1:2], v[1:2], off glc slc
	s_waitcnt vmcnt(2)
	v_cvt_f32_i32_e32 v4, v7
	s_waitcnt vmcnt(1)
	v_cvt_f32_i32_e32 v3, v3
	v_mul_f32_e32 v15, v4, v3
	s_waitcnt vmcnt(0)
	v_subrev_co_u32_e32 v1, vcc, s44, v1
	v_subbrev_co_u32_e32 v2, vcc, 0, v2, vcc
.LBB56_5:
	s_or_b64 exec, exec, s[0:1]
	v_lshlrev_b32_e32 v11, 3, v0
	v_lshlrev_b32_e32 v3, 2, v0
	v_or_b32_e32 v12, 0x800, v3
	v_cmp_eq_u32_e64 s[0:1], 0, v0
	v_cmp_ne_u32_e64 s[2:3], 0, v0
	v_add_u32_e32 v13, -8, v11
	ds_write_b64 v11, v[1:2]
	ds_write_b32 v3, v15 offset:2048
	s_waitcnt lgkmcnt(0)
	s_barrier
	s_and_saveexec_b64 s[8:9], s[2:3]
	s_cbranch_execz .LBB56_9
; %bb.6:
	ds_read_b64 v[3:4], v13
	s_waitcnt lgkmcnt(0)
	v_cmp_eq_u64_e32 vcc, v[1:2], v[3:4]
	s_and_saveexec_b64 s[10:11], vcc
	s_cbranch_execz .LBB56_8
; %bb.7:
	v_add_u32_e32 v3, -4, v12
	ds_read_b32 v3, v3
	s_waitcnt lgkmcnt(0)
	v_add_f32_e32 v15, v15, v3
.LBB56_8:
	s_or_b64 exec, exec, s[10:11]
.LBB56_9:
	s_or_b64 exec, exec, s[8:9]
	v_cmp_lt_u32_e64 s[22:23], 1, v0
	v_add_u32_e32 v14, -16, v11
	s_barrier
	ds_write_b32 v12, v15
	s_waitcnt lgkmcnt(0)
	s_barrier
	s_and_saveexec_b64 s[8:9], s[22:23]
	s_cbranch_execz .LBB56_13
; %bb.10:
	ds_read_b64 v[3:4], v14
	s_waitcnt lgkmcnt(0)
	v_cmp_eq_u64_e32 vcc, v[1:2], v[3:4]
	s_and_saveexec_b64 s[10:11], vcc
	s_cbranch_execz .LBB56_12
; %bb.11:
	v_add_u32_e32 v3, -8, v12
	ds_read_b32 v3, v3
	s_waitcnt lgkmcnt(0)
	v_add_f32_e32 v15, v15, v3
.LBB56_12:
	s_or_b64 exec, exec, s[10:11]
.LBB56_13:
	s_or_b64 exec, exec, s[8:9]
	v_cmp_lt_u32_e64 s[8:9], 3, v0
	v_subrev_u32_e32 v16, 32, v11
	s_barrier
	ds_write_b32 v12, v15
	s_waitcnt lgkmcnt(0)
	s_barrier
	s_and_saveexec_b64 s[10:11], s[8:9]
	s_cbranch_execz .LBB56_17
; %bb.14:
	ds_read_b64 v[3:4], v16
	s_waitcnt lgkmcnt(0)
	v_cmp_eq_u64_e32 vcc, v[1:2], v[3:4]
	s_and_saveexec_b64 s[12:13], vcc
	s_cbranch_execz .LBB56_16
; %bb.15:
	v_add_u32_e32 v3, -16, v12
	ds_read_b32 v3, v3
	s_waitcnt lgkmcnt(0)
	v_add_f32_e32 v15, v15, v3
.LBB56_16:
	s_or_b64 exec, exec, s[12:13]
.LBB56_17:
	s_or_b64 exec, exec, s[10:11]
	v_cmp_lt_u32_e64 s[10:11], 7, v0
	v_subrev_u32_e32 v17, 64, v11
	s_barrier
	ds_write_b32 v12, v15
	s_waitcnt lgkmcnt(0)
	s_barrier
	s_and_saveexec_b64 s[12:13], s[10:11]
	s_cbranch_execz .LBB56_21
; %bb.18:
	ds_read_b64 v[3:4], v17
	s_waitcnt lgkmcnt(0)
	v_cmp_eq_u64_e32 vcc, v[1:2], v[3:4]
	s_and_saveexec_b64 s[14:15], vcc
	s_cbranch_execz .LBB56_20
; %bb.19:
	v_subrev_u32_e32 v3, 32, v12
	ds_read_b32 v3, v3
	s_waitcnt lgkmcnt(0)
	v_add_f32_e32 v15, v15, v3
.LBB56_20:
	s_or_b64 exec, exec, s[14:15]
.LBB56_21:
	s_or_b64 exec, exec, s[12:13]
	v_cmp_lt_u32_e64 s[12:13], 15, v0
	s_barrier
	ds_write_b32 v12, v15
	s_waitcnt lgkmcnt(0)
	s_barrier
	s_and_saveexec_b64 s[14:15], s[12:13]
	s_cbranch_execz .LBB56_25
; %bb.22:
	v_add_u32_e32 v3, 0xffffff80, v11
	ds_read_b64 v[3:4], v3
	s_waitcnt lgkmcnt(0)
	v_cmp_eq_u64_e32 vcc, v[1:2], v[3:4]
	s_and_saveexec_b64 s[16:17], vcc
	s_cbranch_execz .LBB56_24
; %bb.23:
	v_subrev_u32_e32 v3, 64, v12
	ds_read_b32 v3, v3
	s_waitcnt lgkmcnt(0)
	v_add_f32_e32 v15, v15, v3
.LBB56_24:
	s_or_b64 exec, exec, s[16:17]
.LBB56_25:
	s_or_b64 exec, exec, s[14:15]
	v_cmp_lt_u32_e64 s[14:15], 31, v0
	s_barrier
	ds_write_b32 v12, v15
	s_waitcnt lgkmcnt(0)
	s_barrier
	s_and_saveexec_b64 s[16:17], s[14:15]
	s_cbranch_execz .LBB56_29
; %bb.26:
	v_add_u32_e32 v3, 0xffffff00, v11
	ds_read_b64 v[3:4], v3
	s_waitcnt lgkmcnt(0)
	v_cmp_eq_u64_e32 vcc, v[1:2], v[3:4]
	s_and_saveexec_b64 s[18:19], vcc
	s_cbranch_execz .LBB56_28
; %bb.27:
	v_add_u32_e32 v3, 0xffffff80, v12
	ds_read_b32 v3, v3
	s_waitcnt lgkmcnt(0)
	v_add_f32_e32 v15, v15, v3
.LBB56_28:
	s_or_b64 exec, exec, s[18:19]
.LBB56_29:
	s_or_b64 exec, exec, s[16:17]
	v_cmp_lt_u32_e64 s[16:17], 63, v0
	s_barrier
	ds_write_b32 v12, v15
	s_waitcnt lgkmcnt(0)
	s_barrier
	s_and_saveexec_b64 s[18:19], s[16:17]
	s_cbranch_execz .LBB56_33
; %bb.30:
	v_add_u32_e32 v3, 0xfffffe00, v11
	ds_read_b64 v[3:4], v3
	s_waitcnt lgkmcnt(0)
	v_cmp_eq_u64_e32 vcc, v[1:2], v[3:4]
	s_and_saveexec_b64 s[20:21], vcc
	s_cbranch_execz .LBB56_32
; %bb.31:
	v_add_u32_e32 v3, 0xffffff00, v12
	ds_read_b32 v3, v3
	s_waitcnt lgkmcnt(0)
	v_add_f32_e32 v15, v15, v3
.LBB56_32:
	s_or_b64 exec, exec, s[20:21]
.LBB56_33:
	s_or_b64 exec, exec, s[18:19]
	s_load_dwordx2 s[46:47], s[4:5], 0x38
	s_movk_i32 s18, 0x7f
	v_cmp_lt_u32_e64 s[18:19], s18, v0
	s_waitcnt lgkmcnt(0)
	s_barrier
	ds_write_b32 v12, v15
	s_waitcnt lgkmcnt(0)
	s_barrier
	s_and_saveexec_b64 s[20:21], s[18:19]
	s_cbranch_execz .LBB56_37
; %bb.34:
	v_add_u32_e32 v3, 0xfffffc00, v11
	ds_read_b64 v[3:4], v3
	s_waitcnt lgkmcnt(0)
	v_cmp_eq_u64_e32 vcc, v[1:2], v[3:4]
	s_and_saveexec_b64 s[24:25], vcc
	s_cbranch_execz .LBB56_36
; %bb.35:
	v_add_u32_e32 v3, 0xfffffe00, v12
	ds_read_b32 v3, v3
	s_waitcnt lgkmcnt(0)
	v_add_f32_e32 v15, v15, v3
.LBB56_36:
	s_or_b64 exec, exec, s[24:25]
.LBB56_37:
	s_or_b64 exec, exec, s[20:21]
	s_movk_i32 s20, 0xff
	v_cmp_gt_u32_e64 s[20:21], s20, v0
	s_barrier
	ds_write_b32 v12, v15
	s_waitcnt lgkmcnt(0)
	s_barrier
	s_and_saveexec_b64 s[26:27], s[20:21]
	s_cbranch_execz .LBB56_40
; %bb.38:
	ds_read_b64 v[3:4], v11 offset:8
	v_cmp_lt_i64_e64 s[24:25], -1, v[1:2]
	s_waitcnt lgkmcnt(0)
	v_cmp_ne_u64_e32 vcc, v[1:2], v[3:4]
	s_and_b64 s[24:25], s[24:25], vcc
	s_and_b64 exec, exec, s[24:25]
	s_cbranch_execz .LBB56_40
; %bb.39:
	v_lshlrev_b64 v[3:4], 2, v[1:2]
	v_mov_b32_e32 v7, s47
	v_add_co_u32_e32 v3, vcc, s46, v3
	v_addc_co_u32_e32 v4, vcc, v7, v4, vcc
	global_load_dword v7, v[3:4], off
	s_waitcnt vmcnt(0)
	v_fmac_f32_e32 v7, s34, v15
	global_store_dword v[3:4], v7, off
.LBB56_40:
	s_or_b64 exec, exec, s[26:27]
	s_load_dwordx4 s[24:27], s[4:5], 0x40
	v_cmp_lt_i64_e64 s[4:5], s[30:31], 2
	s_and_b64 vcc, exec, s[4:5]
	s_cbranch_vccnz .LBB56_87
; %bb.41:
	s_add_u32 s48, s30, -1
	s_addc_u32 s49, s31, -1
	s_ashr_i32 s4, s44, 31
	s_sub_u32 s5, 0, s44
	s_subb_u32 s4, 0, s4
	s_add_u32 s33, s42, s5
	s_addc_u32 s35, s43, s4
	s_mul_i32 s4, s31, s6
	s_mul_hi_u32 s5, s30, s6
	s_add_i32 s5, s5, s4
	s_mul_i32 s4, s30, s6
	s_lshl_b64 s[4:5], s[4:5], 11
	v_lshl_or_b32 v1, v0, 3, s4
	s_movk_i32 s4, 0x800
	v_mov_b32_e32 v2, s5
	v_add_co_u32_e32 v1, vcc, s4, v1
	v_addc_co_u32_e32 v2, vcc, 0, v2, vcc
	v_mov_b32_e32 v4, s39
	v_add_co_u32_e32 v3, vcc, s38, v1
	v_addc_co_u32_e32 v4, vcc, v4, v2, vcc
	s_movk_i32 s4, 0x100
	v_add_co_u32_e32 v5, vcc, s4, v5
	v_addc_co_u32_e32 v6, vcc, 0, v6, vcc
	v_mov_b32_e32 v8, s37
	v_add_co_u32_e32 v7, vcc, s36, v1
	s_mov_b64 s[50:51], 0
	v_add_u32_e32 v18, -8, v12
	v_add_u32_e32 v19, -16, v12
	v_subrev_u32_e32 v20, 32, v12
	v_add_u32_e32 v21, 0xffffff80, v11
	v_subrev_u32_e32 v22, 64, v12
	v_add_u32_e32 v23, 0xffffff00, v11
	v_add_u32_e32 v24, 0xffffff80, v12
	;; [unrolled: 1-line block ×3, first 2 shown]
	v_addc_co_u32_e32 v8, vcc, v8, v2, vcc
	v_add_u32_e32 v26, 0xffffff00, v12
	v_add_u32_e32 v27, 0xfffffc00, v11
	;; [unrolled: 1-line block ×3, first 2 shown]
	v_mov_b32_e32 v29, 0
	s_branch .LBB56_43
.LBB56_42:                              ;   in Loop: Header=BB56_43 Depth=1
	s_or_b64 exec, exec, s[30:31]
	v_add_co_u32_e32 v3, vcc, 0x800, v3
	v_addc_co_u32_e32 v4, vcc, 0, v4, vcc
	s_add_u32 s50, s50, 1
	v_add_co_u32_e32 v5, vcc, 0x100, v5
	s_addc_u32 s51, s51, 0
	v_mov_b32_e32 v9, s50
	v_addc_co_u32_e32 v6, vcc, 0, v6, vcc
	v_mov_b32_e32 v10, s51
	v_add_co_u32_e32 v7, vcc, 0x800, v7
	v_cmp_le_u64_e64 s[4:5], s[48:49], v[9:10]
	v_addc_co_u32_e32 v8, vcc, 0, v8, vcc
	s_and_b64 vcc, exec, s[4:5]
	s_cbranch_vccnz .LBB56_87
.LBB56_43:                              ; =>This Inner Loop Header: Depth=1
	v_cmp_gt_i64_e32 vcc, s[28:29], v[5:6]
	v_mov_b32_e32 v1, -1
	v_mov_b32_e32 v2, -1
	v_mov_b32_e32 v15, 0
	s_and_saveexec_b64 s[4:5], vcc
	s_cbranch_execz .LBB56_45
; %bb.44:                               ;   in Loop: Header=BB56_43 Depth=1
	global_load_dwordx2 v[1:2], v[3:4], off glc slc
	v_mov_b32_e32 v10, s41
	v_add_co_u32_e32 v9, vcc, s40, v5
	v_addc_co_u32_e32 v10, vcc, v10, v6, vcc
	v_mov_b32_e32 v15, s35
	global_load_sbyte v30, v[9:10], off glc slc
	s_waitcnt vmcnt(1)
	v_add_co_u32_e32 v1, vcc, s33, v1
	v_addc_co_u32_e32 v2, vcc, v15, v2, vcc
	global_load_sbyte v15, v[1:2], off
	global_load_dwordx2 v[9:10], v[7:8], off glc slc
	s_waitcnt vmcnt(2)
	v_cvt_f32_i32_e32 v30, v30
	s_waitcnt vmcnt(1)
	v_cvt_f32_i32_e32 v15, v15
	s_waitcnt vmcnt(0)
	v_subrev_co_u32_e32 v1, vcc, s44, v9
	v_subbrev_co_u32_e32 v2, vcc, 0, v10, vcc
	v_mul_f32_e32 v15, v30, v15
.LBB56_45:                              ;   in Loop: Header=BB56_43 Depth=1
	s_or_b64 exec, exec, s[4:5]
	s_and_saveexec_b64 s[4:5], s[0:1]
	s_cbranch_execz .LBB56_52
; %bb.46:                               ;   in Loop: Header=BB56_43 Depth=1
	ds_read_b64 v[9:10], v29 offset:2040
	s_waitcnt lgkmcnt(0)
	v_cmp_ne_u64_e32 vcc, v[1:2], v[9:10]
	s_and_saveexec_b64 s[30:31], vcc
	s_xor_b64 s[30:31], exec, s[30:31]
	s_cbranch_execz .LBB56_49
; %bb.47:                               ;   in Loop: Header=BB56_43 Depth=1
	v_cmp_gt_i64_e32 vcc, 0, v[9:10]
	s_cbranch_vccnz .LBB56_49
; %bb.48:                               ;   in Loop: Header=BB56_43 Depth=1
	v_lshlrev_b64 v[9:10], 2, v[9:10]
	v_mov_b32_e32 v30, s47
	v_add_co_u32_e32 v9, vcc, s46, v9
	v_addc_co_u32_e32 v10, vcc, v30, v10, vcc
	global_load_dword v30, v[9:10], off
	ds_read_b32 v31, v29 offset:3068
	s_waitcnt vmcnt(0) lgkmcnt(0)
	v_fmac_f32_e32 v30, s34, v31
	global_store_dword v[9:10], v30, off
.LBB56_49:                              ;   in Loop: Header=BB56_43 Depth=1
	s_andn2_saveexec_b64 s[30:31], s[30:31]
	s_cbranch_execz .LBB56_51
; %bb.50:                               ;   in Loop: Header=BB56_43 Depth=1
	ds_read_b32 v9, v29 offset:3068
	s_waitcnt lgkmcnt(0)
	v_add_f32_e32 v15, v15, v9
.LBB56_51:                              ;   in Loop: Header=BB56_43 Depth=1
	s_or_b64 exec, exec, s[30:31]
.LBB56_52:                              ;   in Loop: Header=BB56_43 Depth=1
	s_or_b64 exec, exec, s[4:5]
	s_waitcnt vmcnt(0) lgkmcnt(0)
	s_barrier
	ds_write_b64 v11, v[1:2]
	ds_write_b32 v12, v15
	s_waitcnt lgkmcnt(0)
	s_barrier
	s_and_saveexec_b64 s[4:5], s[2:3]
	s_cbranch_execz .LBB56_56
; %bb.53:                               ;   in Loop: Header=BB56_43 Depth=1
	ds_read_b64 v[9:10], v13
	s_waitcnt lgkmcnt(0)
	v_cmp_eq_u64_e32 vcc, v[1:2], v[9:10]
	s_and_saveexec_b64 s[30:31], vcc
	s_cbranch_execz .LBB56_55
; %bb.54:                               ;   in Loop: Header=BB56_43 Depth=1
	v_add_u32_e32 v9, -4, v12
	ds_read_b32 v9, v9
	s_waitcnt lgkmcnt(0)
	v_add_f32_e32 v15, v15, v9
.LBB56_55:                              ;   in Loop: Header=BB56_43 Depth=1
	s_or_b64 exec, exec, s[30:31]
.LBB56_56:                              ;   in Loop: Header=BB56_43 Depth=1
	s_or_b64 exec, exec, s[4:5]
	s_barrier
	ds_write_b32 v12, v15
	s_waitcnt lgkmcnt(0)
	s_barrier
	s_and_saveexec_b64 s[4:5], s[22:23]
	s_cbranch_execz .LBB56_60
; %bb.57:                               ;   in Loop: Header=BB56_43 Depth=1
	ds_read_b64 v[9:10], v14
	s_waitcnt lgkmcnt(0)
	v_cmp_eq_u64_e32 vcc, v[1:2], v[9:10]
	s_and_saveexec_b64 s[30:31], vcc
	s_cbranch_execz .LBB56_59
; %bb.58:                               ;   in Loop: Header=BB56_43 Depth=1
	ds_read_b32 v9, v18
	s_waitcnt lgkmcnt(0)
	v_add_f32_e32 v15, v15, v9
.LBB56_59:                              ;   in Loop: Header=BB56_43 Depth=1
	s_or_b64 exec, exec, s[30:31]
.LBB56_60:                              ;   in Loop: Header=BB56_43 Depth=1
	s_or_b64 exec, exec, s[4:5]
	s_barrier
	ds_write_b32 v12, v15
	s_waitcnt lgkmcnt(0)
	s_barrier
	s_and_saveexec_b64 s[4:5], s[8:9]
	s_cbranch_execz .LBB56_64
; %bb.61:                               ;   in Loop: Header=BB56_43 Depth=1
	ds_read_b64 v[9:10], v16
	s_waitcnt lgkmcnt(0)
	v_cmp_eq_u64_e32 vcc, v[1:2], v[9:10]
	s_and_saveexec_b64 s[30:31], vcc
	s_cbranch_execz .LBB56_63
; %bb.62:                               ;   in Loop: Header=BB56_43 Depth=1
	ds_read_b32 v9, v19
	s_waitcnt lgkmcnt(0)
	v_add_f32_e32 v15, v15, v9
.LBB56_63:                              ;   in Loop: Header=BB56_43 Depth=1
	s_or_b64 exec, exec, s[30:31]
.LBB56_64:                              ;   in Loop: Header=BB56_43 Depth=1
	;; [unrolled: 20-line block ×7, first 2 shown]
	s_or_b64 exec, exec, s[4:5]
	s_barrier
	ds_write_b32 v12, v15
	s_waitcnt lgkmcnt(0)
	s_barrier
	s_and_saveexec_b64 s[30:31], s[20:21]
	s_cbranch_execz .LBB56_42
; %bb.85:                               ;   in Loop: Header=BB56_43 Depth=1
	ds_read_b64 v[9:10], v11 offset:8
	v_cmp_lt_i64_e64 s[4:5], -1, v[1:2]
	s_waitcnt lgkmcnt(0)
	v_cmp_ne_u64_e32 vcc, v[1:2], v[9:10]
	s_and_b64 s[4:5], s[4:5], vcc
	s_and_b64 exec, exec, s[4:5]
	s_cbranch_execz .LBB56_42
; %bb.86:                               ;   in Loop: Header=BB56_43 Depth=1
	v_lshlrev_b64 v[9:10], 2, v[1:2]
	v_mov_b32_e32 v30, s47
	v_add_co_u32_e32 v9, vcc, s46, v9
	v_addc_co_u32_e32 v10, vcc, v30, v10, vcc
	global_load_dword v30, v[9:10], off
	s_waitcnt vmcnt(0)
	v_fmac_f32_e32 v30, s34, v15
	global_store_dword v[9:10], v30, off
	s_branch .LBB56_42
.LBB56_87:
	s_movk_i32 s0, 0xff
	v_cmp_eq_u32_e32 vcc, s0, v0
	s_and_saveexec_b64 s[0:1], vcc
	s_cbranch_execz .LBB56_89
; %bb.88:
	s_lshl_b64 s[0:1], s[6:7], 3
	s_waitcnt lgkmcnt(0)
	s_add_u32 s0, s24, s0
	s_addc_u32 s1, s25, s1
	s_lshl_b64 s[2:3], s[6:7], 2
	v_mov_b32_e32 v0, 0
	s_add_u32 s2, s26, s2
	v_mul_f32_e32 v3, s34, v15
	s_addc_u32 s3, s27, s3
	global_store_dwordx2 v0, v[1:2], s[0:1] glc slc
	global_store_dword v0, v3, s[2:3] glc slc
.LBB56_89:
	s_endpgm
	.section	.rodata,"a",@progbits
	.p2align	6, 0x0
	.amdhsa_kernel _ZN9rocsparseL22coomvn_segmented_loopsILj256ElaaffEEvlT0_NS_24const_host_device_scalarIT4_EEPKS1_S6_PKT1_PKT2_PT3_PS1_PS3_21rocsparse_index_base_b
		.amdhsa_group_segment_fixed_size 3072
		.amdhsa_private_segment_fixed_size 0
		.amdhsa_kernarg_size 88
		.amdhsa_user_sgpr_count 6
		.amdhsa_user_sgpr_private_segment_buffer 1
		.amdhsa_user_sgpr_dispatch_ptr 0
		.amdhsa_user_sgpr_queue_ptr 0
		.amdhsa_user_sgpr_kernarg_segment_ptr 1
		.amdhsa_user_sgpr_dispatch_id 0
		.amdhsa_user_sgpr_flat_scratch_init 0
		.amdhsa_user_sgpr_private_segment_size 0
		.amdhsa_uses_dynamic_stack 0
		.amdhsa_system_sgpr_private_segment_wavefront_offset 0
		.amdhsa_system_sgpr_workgroup_id_x 1
		.amdhsa_system_sgpr_workgroup_id_y 0
		.amdhsa_system_sgpr_workgroup_id_z 0
		.amdhsa_system_sgpr_workgroup_info 0
		.amdhsa_system_vgpr_workitem_id 0
		.amdhsa_next_free_vgpr 32
		.amdhsa_next_free_sgpr 52
		.amdhsa_reserve_vcc 1
		.amdhsa_reserve_flat_scratch 0
		.amdhsa_float_round_mode_32 0
		.amdhsa_float_round_mode_16_64 0
		.amdhsa_float_denorm_mode_32 3
		.amdhsa_float_denorm_mode_16_64 3
		.amdhsa_dx10_clamp 1
		.amdhsa_ieee_mode 1
		.amdhsa_fp16_overflow 0
		.amdhsa_exception_fp_ieee_invalid_op 0
		.amdhsa_exception_fp_denorm_src 0
		.amdhsa_exception_fp_ieee_div_zero 0
		.amdhsa_exception_fp_ieee_overflow 0
		.amdhsa_exception_fp_ieee_underflow 0
		.amdhsa_exception_fp_ieee_inexact 0
		.amdhsa_exception_int_div_zero 0
	.end_amdhsa_kernel
	.section	.text._ZN9rocsparseL22coomvn_segmented_loopsILj256ElaaffEEvlT0_NS_24const_host_device_scalarIT4_EEPKS1_S6_PKT1_PKT2_PT3_PS1_PS3_21rocsparse_index_base_b,"axG",@progbits,_ZN9rocsparseL22coomvn_segmented_loopsILj256ElaaffEEvlT0_NS_24const_host_device_scalarIT4_EEPKS1_S6_PKT1_PKT2_PT3_PS1_PS3_21rocsparse_index_base_b,comdat
.Lfunc_end56:
	.size	_ZN9rocsparseL22coomvn_segmented_loopsILj256ElaaffEEvlT0_NS_24const_host_device_scalarIT4_EEPKS1_S6_PKT1_PKT2_PT3_PS1_PS3_21rocsparse_index_base_b, .Lfunc_end56-_ZN9rocsparseL22coomvn_segmented_loopsILj256ElaaffEEvlT0_NS_24const_host_device_scalarIT4_EEPKS1_S6_PKT1_PKT2_PT3_PS1_PS3_21rocsparse_index_base_b
                                        ; -- End function
	.set _ZN9rocsparseL22coomvn_segmented_loopsILj256ElaaffEEvlT0_NS_24const_host_device_scalarIT4_EEPKS1_S6_PKT1_PKT2_PT3_PS1_PS3_21rocsparse_index_base_b.num_vgpr, 32
	.set _ZN9rocsparseL22coomvn_segmented_loopsILj256ElaaffEEvlT0_NS_24const_host_device_scalarIT4_EEPKS1_S6_PKT1_PKT2_PT3_PS1_PS3_21rocsparse_index_base_b.num_agpr, 0
	.set _ZN9rocsparseL22coomvn_segmented_loopsILj256ElaaffEEvlT0_NS_24const_host_device_scalarIT4_EEPKS1_S6_PKT1_PKT2_PT3_PS1_PS3_21rocsparse_index_base_b.numbered_sgpr, 52
	.set _ZN9rocsparseL22coomvn_segmented_loopsILj256ElaaffEEvlT0_NS_24const_host_device_scalarIT4_EEPKS1_S6_PKT1_PKT2_PT3_PS1_PS3_21rocsparse_index_base_b.num_named_barrier, 0
	.set _ZN9rocsparseL22coomvn_segmented_loopsILj256ElaaffEEvlT0_NS_24const_host_device_scalarIT4_EEPKS1_S6_PKT1_PKT2_PT3_PS1_PS3_21rocsparse_index_base_b.private_seg_size, 0
	.set _ZN9rocsparseL22coomvn_segmented_loopsILj256ElaaffEEvlT0_NS_24const_host_device_scalarIT4_EEPKS1_S6_PKT1_PKT2_PT3_PS1_PS3_21rocsparse_index_base_b.uses_vcc, 1
	.set _ZN9rocsparseL22coomvn_segmented_loopsILj256ElaaffEEvlT0_NS_24const_host_device_scalarIT4_EEPKS1_S6_PKT1_PKT2_PT3_PS1_PS3_21rocsparse_index_base_b.uses_flat_scratch, 0
	.set _ZN9rocsparseL22coomvn_segmented_loopsILj256ElaaffEEvlT0_NS_24const_host_device_scalarIT4_EEPKS1_S6_PKT1_PKT2_PT3_PS1_PS3_21rocsparse_index_base_b.has_dyn_sized_stack, 0
	.set _ZN9rocsparseL22coomvn_segmented_loopsILj256ElaaffEEvlT0_NS_24const_host_device_scalarIT4_EEPKS1_S6_PKT1_PKT2_PT3_PS1_PS3_21rocsparse_index_base_b.has_recursion, 0
	.set _ZN9rocsparseL22coomvn_segmented_loopsILj256ElaaffEEvlT0_NS_24const_host_device_scalarIT4_EEPKS1_S6_PKT1_PKT2_PT3_PS1_PS3_21rocsparse_index_base_b.has_indirect_call, 0
	.section	.AMDGPU.csdata,"",@progbits
; Kernel info:
; codeLenInByte = 2568
; TotalNumSgprs: 56
; NumVgprs: 32
; ScratchSize: 0
; MemoryBound: 1
; FloatMode: 240
; IeeeMode: 1
; LDSByteSize: 3072 bytes/workgroup (compile time only)
; SGPRBlocks: 6
; VGPRBlocks: 7
; NumSGPRsForWavesPerEU: 56
; NumVGPRsForWavesPerEU: 32
; Occupancy: 8
; WaveLimiterHint : 1
; COMPUTE_PGM_RSRC2:SCRATCH_EN: 0
; COMPUTE_PGM_RSRC2:USER_SGPR: 6
; COMPUTE_PGM_RSRC2:TRAP_HANDLER: 0
; COMPUTE_PGM_RSRC2:TGID_X_EN: 1
; COMPUTE_PGM_RSRC2:TGID_Y_EN: 0
; COMPUTE_PGM_RSRC2:TGID_Z_EN: 0
; COMPUTE_PGM_RSRC2:TIDIG_COMP_CNT: 0
	.section	.text._ZN9rocsparseL13coomvt_kernelILj1024ElaaffEEv20rocsparse_operation_lNS_24const_host_device_scalarIT4_EEPKT0_S7_PKT1_PKT2_PT3_21rocsparse_index_base_b,"axG",@progbits,_ZN9rocsparseL13coomvt_kernelILj1024ElaaffEEv20rocsparse_operation_lNS_24const_host_device_scalarIT4_EEPKT0_S7_PKT1_PKT2_PT3_21rocsparse_index_base_b,comdat
	.globl	_ZN9rocsparseL13coomvt_kernelILj1024ElaaffEEv20rocsparse_operation_lNS_24const_host_device_scalarIT4_EEPKT0_S7_PKT1_PKT2_PT3_21rocsparse_index_base_b ; -- Begin function _ZN9rocsparseL13coomvt_kernelILj1024ElaaffEEv20rocsparse_operation_lNS_24const_host_device_scalarIT4_EEPKT0_S7_PKT1_PKT2_PT3_21rocsparse_index_base_b
	.p2align	8
	.type	_ZN9rocsparseL13coomvt_kernelILj1024ElaaffEEv20rocsparse_operation_lNS_24const_host_device_scalarIT4_EEPKT0_S7_PKT1_PKT2_PT3_21rocsparse_index_base_b,@function
_ZN9rocsparseL13coomvt_kernelILj1024ElaaffEEv20rocsparse_operation_lNS_24const_host_device_scalarIT4_EEPKT0_S7_PKT1_PKT2_PT3_21rocsparse_index_base_b: ; @_ZN9rocsparseL13coomvt_kernelILj1024ElaaffEEv20rocsparse_operation_lNS_24const_host_device_scalarIT4_EEPKT0_S7_PKT1_PKT2_PT3_21rocsparse_index_base_b
; %bb.0:
	s_load_dwordx2 s[16:17], s[4:5], 0x40
	s_load_dwordx4 s[0:3], s[4:5], 0x8
	s_waitcnt lgkmcnt(0)
	s_bitcmp1_b32 s17, 0
	s_cselect_b64 s[8:9], -1, 0
	s_and_b64 vcc, exec, s[8:9]
	s_cbranch_vccnz .LBB57_2
; %bb.1:
	s_load_dword s2, s[2:3], 0x0
.LBB57_2:
	s_waitcnt lgkmcnt(0)
	v_cmp_eq_f32_e64 s[8:9], s2, 0
	s_and_b64 vcc, exec, s[8:9]
	s_cbranch_vccnz .LBB57_6
; %bb.3:
	s_load_dword s3, s[4:5], 0x54
	v_mov_b32_e32 v1, 0
	s_waitcnt lgkmcnt(0)
	s_and_b32 s3, s3, 0xffff
	s_mul_i32 s6, s6, s3
	v_add_u32_e32 v0, s6, v0
	v_cmp_gt_i64_e32 vcc, s[0:1], v[0:1]
	s_and_saveexec_b64 s[0:1], vcc
	s_cbranch_execz .LBB57_6
; %bb.4:
	s_load_dwordx8 s[8:15], s[4:5], 0x18
	v_lshlrev_b64 v[1:2], 3, v[0:1]
	s_load_dwordx2 s[0:1], s[4:5], 0x38
	s_waitcnt lgkmcnt(0)
	v_mov_b32_e32 v4, s9
	v_add_co_u32_e32 v3, vcc, s8, v1
	v_addc_co_u32_e32 v4, vcc, v4, v2, vcc
	global_load_dwordx2 v[3:4], v[3:4], off
	v_mov_b32_e32 v5, s11
	v_add_co_u32_e32 v1, vcc, s10, v1
	v_addc_co_u32_e32 v2, vcc, v5, v2, vcc
	global_load_dwordx2 v[1:2], v[1:2], off
	v_mov_b32_e32 v6, s13
	v_add_co_u32_e32 v5, vcc, s12, v0
	v_addc_co_u32_e32 v6, vcc, 0, v6, vcc
	v_mov_b32_e32 v8, s15
	global_load_sbyte v5, v[5:6], off
	v_mov_b32_e32 v7, s1
	s_waitcnt vmcnt(2)
	v_subrev_co_u32_e32 v3, vcc, s16, v3
	v_subbrev_co_u32_e32 v4, vcc, 0, v4, vcc
	s_waitcnt vmcnt(1)
	v_subrev_co_u32_e32 v0, vcc, s16, v1
	v_subbrev_co_u32_e32 v1, vcc, 0, v2, vcc
	v_add_co_u32_e32 v2, vcc, s14, v3
	v_addc_co_u32_e32 v3, vcc, v8, v4, vcc
	global_load_sbyte v2, v[2:3], off
	v_lshlrev_b64 v[0:1], 2, v[0:1]
	s_waitcnt vmcnt(1)
	v_cvt_f32_i32_e32 v4, v5
	v_add_co_u32_e32 v0, vcc, s0, v0
	v_addc_co_u32_e32 v1, vcc, v7, v1, vcc
	global_load_dword v3, v[0:1], off
	v_mul_f32_e32 v4, s2, v4
	s_mov_b64 s[0:1], 0
	s_waitcnt vmcnt(1)
	v_cvt_f32_i32_e32 v2, v2
	v_mul_f32_e32 v4, v4, v2
.LBB57_5:                               ; =>This Inner Loop Header: Depth=1
	s_waitcnt vmcnt(0)
	v_add_f32_e32 v2, v3, v4
	global_atomic_cmpswap v2, v[0:1], v[2:3], off glc
	s_waitcnt vmcnt(0)
	v_cmp_eq_u32_e32 vcc, v2, v3
	s_or_b64 s[0:1], vcc, s[0:1]
	v_mov_b32_e32 v3, v2
	s_andn2_b64 exec, exec, s[0:1]
	s_cbranch_execnz .LBB57_5
.LBB57_6:
	s_endpgm
	.section	.rodata,"a",@progbits
	.p2align	6, 0x0
	.amdhsa_kernel _ZN9rocsparseL13coomvt_kernelILj1024ElaaffEEv20rocsparse_operation_lNS_24const_host_device_scalarIT4_EEPKT0_S7_PKT1_PKT2_PT3_21rocsparse_index_base_b
		.amdhsa_group_segment_fixed_size 0
		.amdhsa_private_segment_fixed_size 0
		.amdhsa_kernarg_size 328
		.amdhsa_user_sgpr_count 6
		.amdhsa_user_sgpr_private_segment_buffer 1
		.amdhsa_user_sgpr_dispatch_ptr 0
		.amdhsa_user_sgpr_queue_ptr 0
		.amdhsa_user_sgpr_kernarg_segment_ptr 1
		.amdhsa_user_sgpr_dispatch_id 0
		.amdhsa_user_sgpr_flat_scratch_init 0
		.amdhsa_user_sgpr_private_segment_size 0
		.amdhsa_uses_dynamic_stack 0
		.amdhsa_system_sgpr_private_segment_wavefront_offset 0
		.amdhsa_system_sgpr_workgroup_id_x 1
		.amdhsa_system_sgpr_workgroup_id_y 0
		.amdhsa_system_sgpr_workgroup_id_z 0
		.amdhsa_system_sgpr_workgroup_info 0
		.amdhsa_system_vgpr_workitem_id 0
		.amdhsa_next_free_vgpr 9
		.amdhsa_next_free_sgpr 18
		.amdhsa_reserve_vcc 1
		.amdhsa_reserve_flat_scratch 0
		.amdhsa_float_round_mode_32 0
		.amdhsa_float_round_mode_16_64 0
		.amdhsa_float_denorm_mode_32 3
		.amdhsa_float_denorm_mode_16_64 3
		.amdhsa_dx10_clamp 1
		.amdhsa_ieee_mode 1
		.amdhsa_fp16_overflow 0
		.amdhsa_exception_fp_ieee_invalid_op 0
		.amdhsa_exception_fp_denorm_src 0
		.amdhsa_exception_fp_ieee_div_zero 0
		.amdhsa_exception_fp_ieee_overflow 0
		.amdhsa_exception_fp_ieee_underflow 0
		.amdhsa_exception_fp_ieee_inexact 0
		.amdhsa_exception_int_div_zero 0
	.end_amdhsa_kernel
	.section	.text._ZN9rocsparseL13coomvt_kernelILj1024ElaaffEEv20rocsparse_operation_lNS_24const_host_device_scalarIT4_EEPKT0_S7_PKT1_PKT2_PT3_21rocsparse_index_base_b,"axG",@progbits,_ZN9rocsparseL13coomvt_kernelILj1024ElaaffEEv20rocsparse_operation_lNS_24const_host_device_scalarIT4_EEPKT0_S7_PKT1_PKT2_PT3_21rocsparse_index_base_b,comdat
.Lfunc_end57:
	.size	_ZN9rocsparseL13coomvt_kernelILj1024ElaaffEEv20rocsparse_operation_lNS_24const_host_device_scalarIT4_EEPKT0_S7_PKT1_PKT2_PT3_21rocsparse_index_base_b, .Lfunc_end57-_ZN9rocsparseL13coomvt_kernelILj1024ElaaffEEv20rocsparse_operation_lNS_24const_host_device_scalarIT4_EEPKT0_S7_PKT1_PKT2_PT3_21rocsparse_index_base_b
                                        ; -- End function
	.set _ZN9rocsparseL13coomvt_kernelILj1024ElaaffEEv20rocsparse_operation_lNS_24const_host_device_scalarIT4_EEPKT0_S7_PKT1_PKT2_PT3_21rocsparse_index_base_b.num_vgpr, 9
	.set _ZN9rocsparseL13coomvt_kernelILj1024ElaaffEEv20rocsparse_operation_lNS_24const_host_device_scalarIT4_EEPKT0_S7_PKT1_PKT2_PT3_21rocsparse_index_base_b.num_agpr, 0
	.set _ZN9rocsparseL13coomvt_kernelILj1024ElaaffEEv20rocsparse_operation_lNS_24const_host_device_scalarIT4_EEPKT0_S7_PKT1_PKT2_PT3_21rocsparse_index_base_b.numbered_sgpr, 18
	.set _ZN9rocsparseL13coomvt_kernelILj1024ElaaffEEv20rocsparse_operation_lNS_24const_host_device_scalarIT4_EEPKT0_S7_PKT1_PKT2_PT3_21rocsparse_index_base_b.num_named_barrier, 0
	.set _ZN9rocsparseL13coomvt_kernelILj1024ElaaffEEv20rocsparse_operation_lNS_24const_host_device_scalarIT4_EEPKT0_S7_PKT1_PKT2_PT3_21rocsparse_index_base_b.private_seg_size, 0
	.set _ZN9rocsparseL13coomvt_kernelILj1024ElaaffEEv20rocsparse_operation_lNS_24const_host_device_scalarIT4_EEPKT0_S7_PKT1_PKT2_PT3_21rocsparse_index_base_b.uses_vcc, 1
	.set _ZN9rocsparseL13coomvt_kernelILj1024ElaaffEEv20rocsparse_operation_lNS_24const_host_device_scalarIT4_EEPKT0_S7_PKT1_PKT2_PT3_21rocsparse_index_base_b.uses_flat_scratch, 0
	.set _ZN9rocsparseL13coomvt_kernelILj1024ElaaffEEv20rocsparse_operation_lNS_24const_host_device_scalarIT4_EEPKT0_S7_PKT1_PKT2_PT3_21rocsparse_index_base_b.has_dyn_sized_stack, 0
	.set _ZN9rocsparseL13coomvt_kernelILj1024ElaaffEEv20rocsparse_operation_lNS_24const_host_device_scalarIT4_EEPKT0_S7_PKT1_PKT2_PT3_21rocsparse_index_base_b.has_recursion, 0
	.set _ZN9rocsparseL13coomvt_kernelILj1024ElaaffEEv20rocsparse_operation_lNS_24const_host_device_scalarIT4_EEPKT0_S7_PKT1_PKT2_PT3_21rocsparse_index_base_b.has_indirect_call, 0
	.section	.AMDGPU.csdata,"",@progbits
; Kernel info:
; codeLenInByte = 340
; TotalNumSgprs: 22
; NumVgprs: 9
; ScratchSize: 0
; MemoryBound: 0
; FloatMode: 240
; IeeeMode: 1
; LDSByteSize: 0 bytes/workgroup (compile time only)
; SGPRBlocks: 2
; VGPRBlocks: 2
; NumSGPRsForWavesPerEU: 22
; NumVGPRsForWavesPerEU: 9
; Occupancy: 10
; WaveLimiterHint : 1
; COMPUTE_PGM_RSRC2:SCRATCH_EN: 0
; COMPUTE_PGM_RSRC2:USER_SGPR: 6
; COMPUTE_PGM_RSRC2:TRAP_HANDLER: 0
; COMPUTE_PGM_RSRC2:TGID_X_EN: 1
; COMPUTE_PGM_RSRC2:TGID_Y_EN: 0
; COMPUTE_PGM_RSRC2:TGID_Z_EN: 0
; COMPUTE_PGM_RSRC2:TIDIG_COMP_CNT: 0
	.section	.text._ZN9rocsparseL19coomvn_atomic_loopsILj256ELj1ElaaffEEvlNS_24const_host_device_scalarIT5_EEPKT1_S6_PKT2_PKT3_PT4_21rocsparse_index_base_b,"axG",@progbits,_ZN9rocsparseL19coomvn_atomic_loopsILj256ELj1ElaaffEEvlNS_24const_host_device_scalarIT5_EEPKT1_S6_PKT2_PKT3_PT4_21rocsparse_index_base_b,comdat
	.globl	_ZN9rocsparseL19coomvn_atomic_loopsILj256ELj1ElaaffEEvlNS_24const_host_device_scalarIT5_EEPKT1_S6_PKT2_PKT3_PT4_21rocsparse_index_base_b ; -- Begin function _ZN9rocsparseL19coomvn_atomic_loopsILj256ELj1ElaaffEEvlNS_24const_host_device_scalarIT5_EEPKT1_S6_PKT2_PKT3_PT4_21rocsparse_index_base_b
	.p2align	8
	.type	_ZN9rocsparseL19coomvn_atomic_loopsILj256ELj1ElaaffEEvlNS_24const_host_device_scalarIT5_EEPKT1_S6_PKT2_PKT3_PT4_21rocsparse_index_base_b,@function
_ZN9rocsparseL19coomvn_atomic_loopsILj256ELj1ElaaffEEvlNS_24const_host_device_scalarIT5_EEPKT1_S6_PKT2_PKT3_PT4_21rocsparse_index_base_b: ; @_ZN9rocsparseL19coomvn_atomic_loopsILj256ELj1ElaaffEEvlNS_24const_host_device_scalarIT5_EEPKT1_S6_PKT2_PKT3_PT4_21rocsparse_index_base_b
; %bb.0:
	s_load_dwordx2 s[16:17], s[4:5], 0x38
	s_load_dwordx4 s[0:3], s[4:5], 0x0
	s_waitcnt lgkmcnt(0)
	s_bitcmp1_b32 s17, 0
	s_cselect_b64 s[8:9], -1, 0
	s_and_b64 vcc, exec, s[8:9]
	s_cbranch_vccnz .LBB58_2
; %bb.1:
	s_load_dword s2, s[2:3], 0x0
.LBB58_2:
	s_waitcnt lgkmcnt(0)
	v_cmp_eq_f32_e64 s[8:9], s2, 0
	s_and_b64 vcc, exec, s[8:9]
	s_cbranch_vccnz .LBB58_44
; %bb.3:
	v_lshl_or_b32 v1, s6, 8, v0
	v_mov_b32_e32 v2, 0
	v_cmp_gt_i64_e32 vcc, s[0:1], v[1:2]
	v_mov_b32_e32 v3, -1
	v_mov_b32_e32 v4, -1
	s_and_saveexec_b64 s[0:1], vcc
	s_cbranch_execz .LBB58_5
; %bb.4:
	s_load_dwordx8 s[8:15], s[4:5], 0x10
	v_lshlrev_b64 v[2:3], 3, v[1:2]
	s_waitcnt lgkmcnt(0)
	v_mov_b32_e32 v5, s11
	v_add_co_u32_e32 v4, vcc, s10, v2
	v_addc_co_u32_e32 v5, vcc, v5, v3, vcc
	global_load_dwordx2 v[4:5], v[4:5], off glc slc
	v_mov_b32_e32 v7, s13
	v_add_co_u32_e32 v6, vcc, s12, v1
	v_addc_co_u32_e32 v7, vcc, 0, v7, vcc
	v_mov_b32_e32 v9, s15
	global_load_sbyte v6, v[6:7], off glc slc
	v_mov_b32_e32 v8, s9
	s_waitcnt vmcnt(1)
	v_subrev_co_u32_e32 v1, vcc, s16, v4
	v_subbrev_co_u32_e32 v5, vcc, 0, v5, vcc
	v_add_co_u32_e32 v4, vcc, s14, v1
	v_addc_co_u32_e32 v5, vcc, v9, v5, vcc
	global_load_sbyte v4, v[4:5], off
	v_add_co_u32_e32 v1, vcc, s8, v2
	v_addc_co_u32_e32 v2, vcc, v8, v3, vcc
	global_load_dwordx2 v[1:2], v[1:2], off glc slc
	s_waitcnt vmcnt(2)
	v_cvt_f32_i32_e32 v5, v6
	s_waitcnt vmcnt(1)
	v_cvt_f32_i32_e32 v6, v4
	s_waitcnt vmcnt(0)
	v_subrev_co_u32_e32 v3, vcc, s16, v1
	v_subbrev_co_u32_e32 v4, vcc, 0, v2, vcc
	v_mul_f32_e32 v2, v5, v6
.LBB58_5:
	s_or_b64 exec, exec, s[0:1]
	v_lshlrev_b32_e32 v6, 2, v0
	v_lshlrev_b32_e32 v1, 3, v0
	v_or_b32_e32 v5, 0x800, v6
	v_cmp_ne_u32_e32 vcc, 0, v0
	ds_write_b64 v1, v[3:4]
	ds_write_b32 v6, v2 offset:2048
	s_waitcnt lgkmcnt(0)
	s_barrier
	s_and_saveexec_b64 s[0:1], vcc
	s_cbranch_execz .LBB58_9
; %bb.6:
	v_add_u32_e32 v6, -8, v1
	ds_read_b64 v[6:7], v6
	s_waitcnt lgkmcnt(0)
	v_cmp_eq_u64_e32 vcc, v[3:4], v[6:7]
	s_and_saveexec_b64 s[6:7], vcc
	s_cbranch_execz .LBB58_8
; %bb.7:
	v_add_u32_e32 v6, -4, v5
	ds_read_b32 v6, v6
	s_waitcnt lgkmcnt(0)
	v_add_f32_e32 v2, v2, v6
.LBB58_8:
	s_or_b64 exec, exec, s[6:7]
.LBB58_9:
	s_or_b64 exec, exec, s[0:1]
	v_cmp_lt_u32_e32 vcc, 1, v0
	s_barrier
	ds_write_b32 v5, v2
	s_waitcnt lgkmcnt(0)
	s_barrier
	s_and_saveexec_b64 s[0:1], vcc
	s_cbranch_execz .LBB58_13
; %bb.10:
	v_add_u32_e32 v6, -16, v1
	ds_read_b64 v[6:7], v6
	s_waitcnt lgkmcnt(0)
	v_cmp_eq_u64_e32 vcc, v[3:4], v[6:7]
	s_and_saveexec_b64 s[6:7], vcc
	s_cbranch_execz .LBB58_12
; %bb.11:
	v_add_u32_e32 v6, -8, v5
	ds_read_b32 v6, v6
	s_waitcnt lgkmcnt(0)
	v_add_f32_e32 v2, v2, v6
.LBB58_12:
	s_or_b64 exec, exec, s[6:7]
.LBB58_13:
	s_or_b64 exec, exec, s[0:1]
	v_cmp_lt_u32_e32 vcc, 3, v0
	s_barrier
	ds_write_b32 v5, v2
	s_waitcnt lgkmcnt(0)
	s_barrier
	s_and_saveexec_b64 s[0:1], vcc
	s_cbranch_execz .LBB58_17
; %bb.14:
	v_subrev_u32_e32 v6, 32, v1
	ds_read_b64 v[6:7], v6
	s_waitcnt lgkmcnt(0)
	v_cmp_eq_u64_e32 vcc, v[3:4], v[6:7]
	s_and_saveexec_b64 s[6:7], vcc
	s_cbranch_execz .LBB58_16
; %bb.15:
	v_add_u32_e32 v6, -16, v5
	ds_read_b32 v6, v6
	s_waitcnt lgkmcnt(0)
	v_add_f32_e32 v2, v2, v6
.LBB58_16:
	s_or_b64 exec, exec, s[6:7]
.LBB58_17:
	s_or_b64 exec, exec, s[0:1]
	v_cmp_lt_u32_e32 vcc, 7, v0
	s_barrier
	ds_write_b32 v5, v2
	s_waitcnt lgkmcnt(0)
	s_barrier
	s_and_saveexec_b64 s[0:1], vcc
	s_cbranch_execz .LBB58_21
; %bb.18:
	v_subrev_u32_e32 v6, 64, v1
	ds_read_b64 v[6:7], v6
	s_waitcnt lgkmcnt(0)
	v_cmp_eq_u64_e32 vcc, v[3:4], v[6:7]
	s_and_saveexec_b64 s[6:7], vcc
	s_cbranch_execz .LBB58_20
; %bb.19:
	v_subrev_u32_e32 v6, 32, v5
	ds_read_b32 v6, v6
	s_waitcnt lgkmcnt(0)
	v_add_f32_e32 v2, v2, v6
.LBB58_20:
	s_or_b64 exec, exec, s[6:7]
.LBB58_21:
	s_or_b64 exec, exec, s[0:1]
	v_cmp_lt_u32_e32 vcc, 15, v0
	s_barrier
	ds_write_b32 v5, v2
	s_waitcnt lgkmcnt(0)
	s_barrier
	s_and_saveexec_b64 s[0:1], vcc
	s_cbranch_execz .LBB58_25
; %bb.22:
	v_add_u32_e32 v6, 0xffffff80, v1
	ds_read_b64 v[6:7], v6
	s_waitcnt lgkmcnt(0)
	v_cmp_eq_u64_e32 vcc, v[3:4], v[6:7]
	s_and_saveexec_b64 s[6:7], vcc
	s_cbranch_execz .LBB58_24
; %bb.23:
	v_subrev_u32_e32 v6, 64, v5
	ds_read_b32 v6, v6
	s_waitcnt lgkmcnt(0)
	v_add_f32_e32 v2, v2, v6
.LBB58_24:
	s_or_b64 exec, exec, s[6:7]
.LBB58_25:
	s_or_b64 exec, exec, s[0:1]
	v_cmp_lt_u32_e32 vcc, 31, v0
	s_barrier
	ds_write_b32 v5, v2
	s_waitcnt lgkmcnt(0)
	s_barrier
	s_and_saveexec_b64 s[0:1], vcc
	s_cbranch_execz .LBB58_29
; %bb.26:
	v_add_u32_e32 v6, 0xffffff00, v1
	ds_read_b64 v[6:7], v6
	s_waitcnt lgkmcnt(0)
	v_cmp_eq_u64_e32 vcc, v[3:4], v[6:7]
	s_and_saveexec_b64 s[6:7], vcc
	s_cbranch_execz .LBB58_28
; %bb.27:
	v_add_u32_e32 v6, 0xffffff80, v5
	ds_read_b32 v6, v6
	s_waitcnt lgkmcnt(0)
	v_add_f32_e32 v2, v2, v6
.LBB58_28:
	s_or_b64 exec, exec, s[6:7]
.LBB58_29:
	s_or_b64 exec, exec, s[0:1]
	v_cmp_lt_u32_e32 vcc, 63, v0
	s_barrier
	ds_write_b32 v5, v2
	s_waitcnt lgkmcnt(0)
	s_barrier
	s_and_saveexec_b64 s[0:1], vcc
	s_cbranch_execz .LBB58_33
; %bb.30:
	v_add_u32_e32 v6, 0xfffffe00, v1
	ds_read_b64 v[6:7], v6
	s_waitcnt lgkmcnt(0)
	v_cmp_eq_u64_e32 vcc, v[3:4], v[6:7]
	s_and_saveexec_b64 s[6:7], vcc
	s_cbranch_execz .LBB58_32
; %bb.31:
	v_add_u32_e32 v6, 0xffffff00, v5
	ds_read_b32 v6, v6
	s_waitcnt lgkmcnt(0)
	v_add_f32_e32 v2, v2, v6
.LBB58_32:
	s_or_b64 exec, exec, s[6:7]
.LBB58_33:
	s_or_b64 exec, exec, s[0:1]
	s_load_dwordx2 s[4:5], s[4:5], 0x30
	s_movk_i32 s0, 0x7f
	v_cmp_lt_u32_e32 vcc, s0, v0
	s_waitcnt lgkmcnt(0)
	s_barrier
	ds_write_b32 v5, v2
	s_waitcnt lgkmcnt(0)
	s_barrier
	s_and_saveexec_b64 s[0:1], vcc
	s_cbranch_execz .LBB58_37
; %bb.34:
	v_add_u32_e32 v6, 0xfffffc00, v1
	ds_read_b64 v[6:7], v6
	s_waitcnt lgkmcnt(0)
	v_cmp_eq_u64_e32 vcc, v[3:4], v[6:7]
	s_and_saveexec_b64 s[6:7], vcc
	s_cbranch_execz .LBB58_36
; %bb.35:
	v_add_u32_e32 v6, 0xfffffe00, v5
	ds_read_b32 v6, v6
	s_waitcnt lgkmcnt(0)
	v_add_f32_e32 v2, v2, v6
.LBB58_36:
	s_or_b64 exec, exec, s[6:7]
.LBB58_37:
	s_or_b64 exec, exec, s[0:1]
	s_movk_i32 s3, 0xff
	v_cmp_gt_u32_e32 vcc, s3, v0
	s_barrier
	ds_write_b32 v5, v2
	s_waitcnt lgkmcnt(0)
	s_barrier
	s_and_saveexec_b64 s[6:7], vcc
	s_cbranch_execz .LBB58_41
; %bb.38:
	ds_read_b64 v[5:6], v1 offset:8
	v_cmp_lt_i64_e64 s[0:1], -1, v[3:4]
	s_waitcnt lgkmcnt(0)
	v_cmp_ne_u64_e32 vcc, v[3:4], v[5:6]
	s_and_b64 s[0:1], s[0:1], vcc
	s_and_b64 exec, exec, s[0:1]
	s_cbranch_execz .LBB58_41
; %bb.39:
	v_lshlrev_b64 v[5:6], 2, v[3:4]
	v_mov_b32_e32 v1, s5
	v_add_co_u32_e32 v5, vcc, s4, v5
	v_addc_co_u32_e32 v6, vcc, v1, v6, vcc
	global_load_dword v8, v[5:6], off
	v_mul_f32_e32 v1, s2, v2
	s_mov_b64 s[0:1], 0
.LBB58_40:                              ; =>This Inner Loop Header: Depth=1
	s_waitcnt vmcnt(0)
	v_add_f32_e32 v7, v8, v1
	global_atomic_cmpswap v7, v[5:6], v[7:8], off glc
	s_waitcnt vmcnt(0)
	v_cmp_eq_u32_e32 vcc, v7, v8
	s_or_b64 s[0:1], vcc, s[0:1]
	v_mov_b32_e32 v8, v7
	s_andn2_b64 exec, exec, s[0:1]
	s_cbranch_execnz .LBB58_40
.LBB58_41:
	s_or_b64 exec, exec, s[6:7]
	v_cmp_lt_i64_e32 vcc, -1, v[3:4]
	v_cmp_eq_u32_e64 s[0:1], s3, v0
	s_and_b64 s[0:1], s[0:1], vcc
	s_and_saveexec_b64 s[6:7], s[0:1]
	s_cbranch_execz .LBB58_44
; %bb.42:
	v_lshlrev_b64 v[0:1], 2, v[3:4]
	v_mov_b32_e32 v3, s5
	v_add_co_u32_e32 v0, vcc, s4, v0
	v_addc_co_u32_e32 v1, vcc, v3, v1, vcc
	global_load_dword v3, v[0:1], off
	v_mul_f32_e32 v4, s2, v2
	s_mov_b64 s[0:1], 0
.LBB58_43:                              ; =>This Inner Loop Header: Depth=1
	s_waitcnt vmcnt(0)
	v_add_f32_e32 v2, v3, v4
	global_atomic_cmpswap v2, v[0:1], v[2:3], off glc
	s_waitcnt vmcnt(0)
	v_cmp_eq_u32_e32 vcc, v2, v3
	s_or_b64 s[0:1], vcc, s[0:1]
	v_mov_b32_e32 v3, v2
	s_andn2_b64 exec, exec, s[0:1]
	s_cbranch_execnz .LBB58_43
.LBB58_44:
	s_endpgm
	.section	.rodata,"a",@progbits
	.p2align	6, 0x0
	.amdhsa_kernel _ZN9rocsparseL19coomvn_atomic_loopsILj256ELj1ElaaffEEvlNS_24const_host_device_scalarIT5_EEPKT1_S6_PKT2_PKT3_PT4_21rocsparse_index_base_b
		.amdhsa_group_segment_fixed_size 3072
		.amdhsa_private_segment_fixed_size 0
		.amdhsa_kernarg_size 64
		.amdhsa_user_sgpr_count 6
		.amdhsa_user_sgpr_private_segment_buffer 1
		.amdhsa_user_sgpr_dispatch_ptr 0
		.amdhsa_user_sgpr_queue_ptr 0
		.amdhsa_user_sgpr_kernarg_segment_ptr 1
		.amdhsa_user_sgpr_dispatch_id 0
		.amdhsa_user_sgpr_flat_scratch_init 0
		.amdhsa_user_sgpr_private_segment_size 0
		.amdhsa_uses_dynamic_stack 0
		.amdhsa_system_sgpr_private_segment_wavefront_offset 0
		.amdhsa_system_sgpr_workgroup_id_x 1
		.amdhsa_system_sgpr_workgroup_id_y 0
		.amdhsa_system_sgpr_workgroup_id_z 0
		.amdhsa_system_sgpr_workgroup_info 0
		.amdhsa_system_vgpr_workitem_id 0
		.amdhsa_next_free_vgpr 10
		.amdhsa_next_free_sgpr 18
		.amdhsa_reserve_vcc 1
		.amdhsa_reserve_flat_scratch 0
		.amdhsa_float_round_mode_32 0
		.amdhsa_float_round_mode_16_64 0
		.amdhsa_float_denorm_mode_32 3
		.amdhsa_float_denorm_mode_16_64 3
		.amdhsa_dx10_clamp 1
		.amdhsa_ieee_mode 1
		.amdhsa_fp16_overflow 0
		.amdhsa_exception_fp_ieee_invalid_op 0
		.amdhsa_exception_fp_denorm_src 0
		.amdhsa_exception_fp_ieee_div_zero 0
		.amdhsa_exception_fp_ieee_overflow 0
		.amdhsa_exception_fp_ieee_underflow 0
		.amdhsa_exception_fp_ieee_inexact 0
		.amdhsa_exception_int_div_zero 0
	.end_amdhsa_kernel
	.section	.text._ZN9rocsparseL19coomvn_atomic_loopsILj256ELj1ElaaffEEvlNS_24const_host_device_scalarIT5_EEPKT1_S6_PKT2_PKT3_PT4_21rocsparse_index_base_b,"axG",@progbits,_ZN9rocsparseL19coomvn_atomic_loopsILj256ELj1ElaaffEEvlNS_24const_host_device_scalarIT5_EEPKT1_S6_PKT2_PKT3_PT4_21rocsparse_index_base_b,comdat
.Lfunc_end58:
	.size	_ZN9rocsparseL19coomvn_atomic_loopsILj256ELj1ElaaffEEvlNS_24const_host_device_scalarIT5_EEPKT1_S6_PKT2_PKT3_PT4_21rocsparse_index_base_b, .Lfunc_end58-_ZN9rocsparseL19coomvn_atomic_loopsILj256ELj1ElaaffEEvlNS_24const_host_device_scalarIT5_EEPKT1_S6_PKT2_PKT3_PT4_21rocsparse_index_base_b
                                        ; -- End function
	.set _ZN9rocsparseL19coomvn_atomic_loopsILj256ELj1ElaaffEEvlNS_24const_host_device_scalarIT5_EEPKT1_S6_PKT2_PKT3_PT4_21rocsparse_index_base_b.num_vgpr, 10
	.set _ZN9rocsparseL19coomvn_atomic_loopsILj256ELj1ElaaffEEvlNS_24const_host_device_scalarIT5_EEPKT1_S6_PKT2_PKT3_PT4_21rocsparse_index_base_b.num_agpr, 0
	.set _ZN9rocsparseL19coomvn_atomic_loopsILj256ELj1ElaaffEEvlNS_24const_host_device_scalarIT5_EEPKT1_S6_PKT2_PKT3_PT4_21rocsparse_index_base_b.numbered_sgpr, 18
	.set _ZN9rocsparseL19coomvn_atomic_loopsILj256ELj1ElaaffEEvlNS_24const_host_device_scalarIT5_EEPKT1_S6_PKT2_PKT3_PT4_21rocsparse_index_base_b.num_named_barrier, 0
	.set _ZN9rocsparseL19coomvn_atomic_loopsILj256ELj1ElaaffEEvlNS_24const_host_device_scalarIT5_EEPKT1_S6_PKT2_PKT3_PT4_21rocsparse_index_base_b.private_seg_size, 0
	.set _ZN9rocsparseL19coomvn_atomic_loopsILj256ELj1ElaaffEEvlNS_24const_host_device_scalarIT5_EEPKT1_S6_PKT2_PKT3_PT4_21rocsparse_index_base_b.uses_vcc, 1
	.set _ZN9rocsparseL19coomvn_atomic_loopsILj256ELj1ElaaffEEvlNS_24const_host_device_scalarIT5_EEPKT1_S6_PKT2_PKT3_PT4_21rocsparse_index_base_b.uses_flat_scratch, 0
	.set _ZN9rocsparseL19coomvn_atomic_loopsILj256ELj1ElaaffEEvlNS_24const_host_device_scalarIT5_EEPKT1_S6_PKT2_PKT3_PT4_21rocsparse_index_base_b.has_dyn_sized_stack, 0
	.set _ZN9rocsparseL19coomvn_atomic_loopsILj256ELj1ElaaffEEvlNS_24const_host_device_scalarIT5_EEPKT1_S6_PKT2_PKT3_PT4_21rocsparse_index_base_b.has_recursion, 0
	.set _ZN9rocsparseL19coomvn_atomic_loopsILj256ELj1ElaaffEEvlNS_24const_host_device_scalarIT5_EEPKT1_S6_PKT2_PKT3_PT4_21rocsparse_index_base_b.has_indirect_call, 0
	.section	.AMDGPU.csdata,"",@progbits
; Kernel info:
; codeLenInByte = 1268
; TotalNumSgprs: 22
; NumVgprs: 10
; ScratchSize: 0
; MemoryBound: 0
; FloatMode: 240
; IeeeMode: 1
; LDSByteSize: 3072 bytes/workgroup (compile time only)
; SGPRBlocks: 2
; VGPRBlocks: 2
; NumSGPRsForWavesPerEU: 22
; NumVGPRsForWavesPerEU: 10
; Occupancy: 10
; WaveLimiterHint : 1
; COMPUTE_PGM_RSRC2:SCRATCH_EN: 0
; COMPUTE_PGM_RSRC2:USER_SGPR: 6
; COMPUTE_PGM_RSRC2:TRAP_HANDLER: 0
; COMPUTE_PGM_RSRC2:TGID_X_EN: 1
; COMPUTE_PGM_RSRC2:TGID_Y_EN: 0
; COMPUTE_PGM_RSRC2:TGID_Z_EN: 0
; COMPUTE_PGM_RSRC2:TIDIG_COMP_CNT: 0
	.section	.text._ZN9rocsparseL19coomvn_atomic_loopsILj256ELj2ElaaffEEvlNS_24const_host_device_scalarIT5_EEPKT1_S6_PKT2_PKT3_PT4_21rocsparse_index_base_b,"axG",@progbits,_ZN9rocsparseL19coomvn_atomic_loopsILj256ELj2ElaaffEEvlNS_24const_host_device_scalarIT5_EEPKT1_S6_PKT2_PKT3_PT4_21rocsparse_index_base_b,comdat
	.globl	_ZN9rocsparseL19coomvn_atomic_loopsILj256ELj2ElaaffEEvlNS_24const_host_device_scalarIT5_EEPKT1_S6_PKT2_PKT3_PT4_21rocsparse_index_base_b ; -- Begin function _ZN9rocsparseL19coomvn_atomic_loopsILj256ELj2ElaaffEEvlNS_24const_host_device_scalarIT5_EEPKT1_S6_PKT2_PKT3_PT4_21rocsparse_index_base_b
	.p2align	8
	.type	_ZN9rocsparseL19coomvn_atomic_loopsILj256ELj2ElaaffEEvlNS_24const_host_device_scalarIT5_EEPKT1_S6_PKT2_PKT3_PT4_21rocsparse_index_base_b,@function
_ZN9rocsparseL19coomvn_atomic_loopsILj256ELj2ElaaffEEvlNS_24const_host_device_scalarIT5_EEPKT1_S6_PKT2_PKT3_PT4_21rocsparse_index_base_b: ; @_ZN9rocsparseL19coomvn_atomic_loopsILj256ELj2ElaaffEEvlNS_24const_host_device_scalarIT5_EEPKT1_S6_PKT2_PKT3_PT4_21rocsparse_index_base_b
; %bb.0:
	s_load_dwordx2 s[34:35], s[4:5], 0x38
	s_load_dwordx4 s[36:39], s[4:5], 0x0
	s_waitcnt lgkmcnt(0)
	s_bitcmp1_b32 s35, 0
	s_cselect_b64 s[0:1], -1, 0
	s_and_b64 vcc, exec, s[0:1]
	s_cbranch_vccnz .LBB59_2
; %bb.1:
	s_load_dword s38, s[38:39], 0x0
.LBB59_2:
	s_waitcnt lgkmcnt(0)
	v_cmp_eq_f32_e64 s[0:1], s38, 0
	s_and_b64 vcc, exec, s[0:1]
	s_cbranch_vccnz .LBB59_92
; %bb.3:
	s_load_dwordx8 s[24:31], s[4:5], 0x10
	v_lshl_or_b32 v3, s6, 9, v0
	v_mov_b32_e32 v4, 0
	v_cmp_gt_i64_e32 vcc, s[36:37], v[3:4]
	v_mov_b32_e32 v5, -1
	v_lshlrev_b64 v[1:2], 3, v[3:4]
	v_mov_b32_e32 v6, -1
	s_and_saveexec_b64 s[0:1], vcc
	s_cbranch_execz .LBB59_5
; %bb.4:
	s_waitcnt lgkmcnt(0)
	v_mov_b32_e32 v5, s27
	v_add_co_u32_e32 v4, vcc, s26, v1
	v_addc_co_u32_e32 v5, vcc, v5, v2, vcc
	global_load_dwordx2 v[4:5], v[4:5], off glc slc
	v_mov_b32_e32 v7, s29
	v_add_co_u32_e32 v6, vcc, s28, v3
	v_addc_co_u32_e32 v7, vcc, 0, v7, vcc
	v_mov_b32_e32 v9, s31
	global_load_sbyte v7, v[6:7], off glc slc
	v_mov_b32_e32 v8, s25
	s_waitcnt vmcnt(1)
	v_subrev_co_u32_e32 v4, vcc, s34, v4
	v_subbrev_co_u32_e32 v5, vcc, 0, v5, vcc
	v_add_co_u32_e32 v4, vcc, s30, v4
	v_addc_co_u32_e32 v5, vcc, v9, v5, vcc
	global_load_sbyte v9, v[4:5], off
	v_add_co_u32_e32 v4, vcc, s24, v1
	v_addc_co_u32_e32 v5, vcc, v8, v2, vcc
	global_load_dwordx2 v[5:6], v[4:5], off glc slc
	s_waitcnt vmcnt(2)
	v_cvt_f32_i32_e32 v4, v7
	s_waitcnt vmcnt(1)
	v_cvt_f32_i32_e32 v7, v9
	v_mul_f32_e32 v4, v4, v7
	s_waitcnt vmcnt(0)
	v_subrev_co_u32_e32 v5, vcc, s34, v5
	v_subbrev_co_u32_e32 v6, vcc, 0, v6, vcc
.LBB59_5:
	s_or_b64 exec, exec, s[0:1]
	v_lshlrev_b32_e32 v9, 3, v0
	v_lshlrev_b32_e32 v7, 2, v0
	v_or_b32_e32 v10, 0x800, v7
	v_cmp_eq_u32_e64 s[18:19], 0, v0
	v_cmp_ne_u32_e64 s[0:1], 0, v0
	v_add_u32_e32 v11, -8, v9
	ds_write_b64 v9, v[5:6]
	ds_write_b32 v7, v4 offset:2048
	s_waitcnt lgkmcnt(0)
	s_barrier
	s_and_saveexec_b64 s[2:3], s[0:1]
	s_cbranch_execz .LBB59_9
; %bb.6:
	ds_read_b64 v[7:8], v11
	s_waitcnt lgkmcnt(0)
	v_cmp_eq_u64_e32 vcc, v[5:6], v[7:8]
	s_and_saveexec_b64 s[6:7], vcc
	s_cbranch_execz .LBB59_8
; %bb.7:
	v_add_u32_e32 v7, -4, v10
	ds_read_b32 v7, v7
	s_waitcnt lgkmcnt(0)
	v_add_f32_e32 v4, v4, v7
.LBB59_8:
	s_or_b64 exec, exec, s[6:7]
.LBB59_9:
	s_or_b64 exec, exec, s[2:3]
	v_cmp_lt_u32_e64 s[2:3], 1, v0
	v_add_u32_e32 v12, -16, v9
	s_barrier
	ds_write_b32 v10, v4
	s_waitcnt lgkmcnt(0)
	s_barrier
	s_and_saveexec_b64 s[6:7], s[2:3]
	s_cbranch_execz .LBB59_13
; %bb.10:
	ds_read_b64 v[7:8], v12
	s_waitcnt lgkmcnt(0)
	v_cmp_eq_u64_e32 vcc, v[5:6], v[7:8]
	s_and_saveexec_b64 s[8:9], vcc
	s_cbranch_execz .LBB59_12
; %bb.11:
	v_add_u32_e32 v7, -8, v10
	ds_read_b32 v7, v7
	s_waitcnt lgkmcnt(0)
	v_add_f32_e32 v4, v4, v7
.LBB59_12:
	s_or_b64 exec, exec, s[8:9]
.LBB59_13:
	s_or_b64 exec, exec, s[6:7]
	v_cmp_lt_u32_e64 s[20:21], 3, v0
	v_subrev_u32_e32 v13, 32, v9
	s_barrier
	ds_write_b32 v10, v4
	s_waitcnt lgkmcnt(0)
	s_barrier
	s_and_saveexec_b64 s[6:7], s[20:21]
	s_cbranch_execz .LBB59_17
; %bb.14:
	ds_read_b64 v[7:8], v13
	s_waitcnt lgkmcnt(0)
	v_cmp_eq_u64_e32 vcc, v[5:6], v[7:8]
	s_and_saveexec_b64 s[8:9], vcc
	s_cbranch_execz .LBB59_16
; %bb.15:
	v_add_u32_e32 v7, -16, v10
	ds_read_b32 v7, v7
	s_waitcnt lgkmcnt(0)
	v_add_f32_e32 v4, v4, v7
.LBB59_16:
	s_or_b64 exec, exec, s[8:9]
.LBB59_17:
	s_or_b64 exec, exec, s[6:7]
	v_cmp_lt_u32_e64 s[6:7], 7, v0
	v_subrev_u32_e32 v14, 64, v9
	s_barrier
	ds_write_b32 v10, v4
	s_waitcnt lgkmcnt(0)
	s_barrier
	s_and_saveexec_b64 s[8:9], s[6:7]
	s_cbranch_execz .LBB59_21
; %bb.18:
	ds_read_b64 v[7:8], v14
	s_waitcnt lgkmcnt(0)
	v_cmp_eq_u64_e32 vcc, v[5:6], v[7:8]
	s_and_saveexec_b64 s[10:11], vcc
	s_cbranch_execz .LBB59_20
; %bb.19:
	v_subrev_u32_e32 v7, 32, v10
	ds_read_b32 v7, v7
	s_waitcnt lgkmcnt(0)
	v_add_f32_e32 v4, v4, v7
.LBB59_20:
	s_or_b64 exec, exec, s[10:11]
.LBB59_21:
	s_or_b64 exec, exec, s[8:9]
	v_cmp_lt_u32_e64 s[8:9], 15, v0
	s_barrier
	ds_write_b32 v10, v4
	s_waitcnt lgkmcnt(0)
	s_barrier
	s_and_saveexec_b64 s[10:11], s[8:9]
	s_cbranch_execz .LBB59_25
; %bb.22:
	v_add_u32_e32 v7, 0xffffff80, v9
	ds_read_b64 v[7:8], v7
	s_waitcnt lgkmcnt(0)
	v_cmp_eq_u64_e32 vcc, v[5:6], v[7:8]
	s_and_saveexec_b64 s[12:13], vcc
	s_cbranch_execz .LBB59_24
; %bb.23:
	v_subrev_u32_e32 v7, 64, v10
	ds_read_b32 v7, v7
	s_waitcnt lgkmcnt(0)
	v_add_f32_e32 v4, v4, v7
.LBB59_24:
	s_or_b64 exec, exec, s[12:13]
.LBB59_25:
	s_or_b64 exec, exec, s[10:11]
	v_cmp_lt_u32_e64 s[10:11], 31, v0
	s_barrier
	ds_write_b32 v10, v4
	s_waitcnt lgkmcnt(0)
	s_barrier
	s_and_saveexec_b64 s[12:13], s[10:11]
	s_cbranch_execz .LBB59_29
; %bb.26:
	v_add_u32_e32 v7, 0xffffff00, v9
	ds_read_b64 v[7:8], v7
	s_waitcnt lgkmcnt(0)
	v_cmp_eq_u64_e32 vcc, v[5:6], v[7:8]
	s_and_saveexec_b64 s[14:15], vcc
	s_cbranch_execz .LBB59_28
; %bb.27:
	v_add_u32_e32 v7, 0xffffff80, v10
	ds_read_b32 v7, v7
	s_waitcnt lgkmcnt(0)
	v_add_f32_e32 v4, v4, v7
.LBB59_28:
	s_or_b64 exec, exec, s[14:15]
.LBB59_29:
	s_or_b64 exec, exec, s[12:13]
	v_cmp_lt_u32_e64 s[12:13], 63, v0
	s_barrier
	ds_write_b32 v10, v4
	s_waitcnt lgkmcnt(0)
	s_barrier
	s_and_saveexec_b64 s[14:15], s[12:13]
	s_cbranch_execz .LBB59_33
; %bb.30:
	v_add_u32_e32 v7, 0xfffffe00, v9
	ds_read_b64 v[7:8], v7
	s_waitcnt lgkmcnt(0)
	v_cmp_eq_u64_e32 vcc, v[5:6], v[7:8]
	s_and_saveexec_b64 s[16:17], vcc
	s_cbranch_execz .LBB59_32
; %bb.31:
	v_add_u32_e32 v7, 0xffffff00, v10
	ds_read_b32 v7, v7
	s_waitcnt lgkmcnt(0)
	v_add_f32_e32 v4, v4, v7
.LBB59_32:
	s_or_b64 exec, exec, s[16:17]
.LBB59_33:
	s_or_b64 exec, exec, s[14:15]
	s_load_dwordx2 s[22:23], s[4:5], 0x30
	s_movk_i32 s4, 0x7f
	v_cmp_lt_u32_e64 s[14:15], s4, v0
	s_waitcnt lgkmcnt(0)
	s_barrier
	ds_write_b32 v10, v4
	s_waitcnt lgkmcnt(0)
	s_barrier
	s_and_saveexec_b64 s[4:5], s[14:15]
	s_cbranch_execz .LBB59_37
; %bb.34:
	v_add_u32_e32 v7, 0xfffffc00, v9
	ds_read_b64 v[7:8], v7
	s_waitcnt lgkmcnt(0)
	v_cmp_eq_u64_e32 vcc, v[5:6], v[7:8]
	s_and_saveexec_b64 s[16:17], vcc
	s_cbranch_execz .LBB59_36
; %bb.35:
	v_add_u32_e32 v7, 0xfffffe00, v10
	ds_read_b32 v7, v7
	s_waitcnt lgkmcnt(0)
	v_add_f32_e32 v4, v4, v7
.LBB59_36:
	s_or_b64 exec, exec, s[16:17]
.LBB59_37:
	s_or_b64 exec, exec, s[4:5]
	s_movk_i32 s4, 0xff
	v_cmp_gt_u32_e64 s[16:17], s4, v0
	s_barrier
	ds_write_b32 v10, v4
	s_waitcnt lgkmcnt(0)
	s_barrier
	s_and_saveexec_b64 s[40:41], s[16:17]
	s_cbranch_execz .LBB59_41
; %bb.38:
	ds_read_b64 v[7:8], v9 offset:8
	v_cmp_lt_i64_e64 s[4:5], -1, v[5:6]
	s_waitcnt lgkmcnt(0)
	v_cmp_ne_u64_e32 vcc, v[5:6], v[7:8]
	s_and_b64 s[4:5], s[4:5], vcc
	s_and_b64 exec, exec, s[4:5]
	s_cbranch_execz .LBB59_41
; %bb.39:
	v_lshlrev_b64 v[5:6], 2, v[5:6]
	v_mov_b32_e32 v7, s23
	v_add_co_u32_e32 v5, vcc, s22, v5
	v_addc_co_u32_e32 v6, vcc, v7, v6, vcc
	global_load_dword v8, v[5:6], off
	v_mul_f32_e32 v4, s38, v4
	s_mov_b64 s[4:5], 0
.LBB59_40:                              ; =>This Inner Loop Header: Depth=1
	s_waitcnt vmcnt(0)
	v_add_f32_e32 v7, v8, v4
	global_atomic_cmpswap v7, v[5:6], v[7:8], off glc
	s_waitcnt vmcnt(0)
	v_cmp_eq_u32_e32 vcc, v7, v8
	s_or_b64 s[4:5], vcc, s[4:5]
	v_mov_b32_e32 v8, v7
	s_andn2_b64 exec, exec, s[4:5]
	s_cbranch_execnz .LBB59_40
.LBB59_41:
	s_or_b64 exec, exec, s[40:41]
	v_add_co_u32_e32 v4, vcc, 0x100, v3
	v_addc_co_u32_e64 v5, s[4:5], 0, 0, vcc
	v_cmp_gt_i64_e32 vcc, s[36:37], v[4:5]
	v_mov_b32_e32 v4, -1
	v_mov_b32_e32 v5, -1
	v_mov_b32_e32 v8, 0
	s_and_saveexec_b64 s[4:5], vcc
	s_cbranch_execz .LBB59_43
; %bb.42:
	v_mov_b32_e32 v5, s27
	v_add_co_u32_e32 v4, vcc, s26, v1
	v_addc_co_u32_e32 v5, vcc, v5, v2, vcc
	global_load_dwordx2 v[4:5], v[4:5], off offset:2048 glc slc
	v_mov_b32_e32 v7, s29
	v_add_co_u32_e32 v6, vcc, s28, v3
	v_addc_co_u32_e32 v7, vcc, 0, v7, vcc
	v_mov_b32_e32 v15, s31
	global_load_sbyte v6, v[6:7], off offset:256 glc slc
	v_mov_b32_e32 v8, s25
	s_waitcnt vmcnt(1)
	v_subrev_co_u32_e32 v3, vcc, s34, v4
	v_subbrev_co_u32_e32 v4, vcc, 0, v5, vcc
	v_add_co_u32_e32 v3, vcc, s30, v3
	v_addc_co_u32_e32 v4, vcc, v15, v4, vcc
	global_load_sbyte v3, v[3:4], off
	v_add_co_u32_e32 v1, vcc, s24, v1
	v_addc_co_u32_e32 v2, vcc, v8, v2, vcc
	global_load_dwordx2 v[1:2], v[1:2], off offset:2048 glc slc
	s_waitcnt vmcnt(2)
	v_cvt_f32_i32_e32 v6, v6
	s_waitcnt vmcnt(1)
	v_cvt_f32_i32_e32 v3, v3
	v_mul_f32_e32 v8, v6, v3
	s_waitcnt vmcnt(0)
	v_subrev_co_u32_e32 v4, vcc, s34, v1
	v_subbrev_co_u32_e32 v5, vcc, 0, v2, vcc
.LBB59_43:
	s_or_b64 exec, exec, s[4:5]
	s_and_saveexec_b64 s[4:5], s[18:19]
	s_cbranch_execz .LBB59_53
; %bb.44:
	v_mov_b32_e32 v1, 0
	ds_read_b64 v[1:2], v1 offset:2040
	s_waitcnt lgkmcnt(0)
	v_cmp_ne_u64_e32 vcc, v[4:5], v[1:2]
	s_and_saveexec_b64 s[18:19], vcc
	s_xor_b64 s[18:19], exec, s[18:19]
	s_cbranch_execz .LBB59_50
; %bb.45:
	v_cmp_gt_i64_e32 vcc, 0, v[1:2]
	s_cbranch_vccnz .LBB59_50
; %bb.46:
	s_mov_b64 s[26:27], exec
	v_mbcnt_lo_u32_b32 v3, s26, 0
	v_mbcnt_hi_u32_b32 v3, s27, v3
	v_cmp_eq_u32_e32 vcc, 0, v3
	s_and_saveexec_b64 s[24:25], vcc
	s_cbranch_execz .LBB59_49
; %bb.47:
	v_lshlrev_b64 v[1:2], 2, v[1:2]
	v_mov_b32_e32 v3, s23
	v_add_co_u32_e32 v1, vcc, s22, v1
	v_addc_co_u32_e32 v2, vcc, v3, v2, vcc
	global_load_dword v7, v[1:2], off
	v_mov_b32_e32 v3, 0
	ds_read_b32 v3, v3 offset:3068
	s_bcnt1_i32_b64 s26, s[26:27]
	v_cvt_f32_ubyte0_e32 v6, s26
	s_mov_b64 s[26:27], 0
	s_waitcnt lgkmcnt(0)
	v_mul_f32_e32 v3, s38, v3
	v_mul_f32_e32 v3, v3, v6
.LBB59_48:                              ; =>This Inner Loop Header: Depth=1
	s_waitcnt vmcnt(0)
	v_add_f32_e32 v6, v7, v3
	global_atomic_cmpswap v6, v[1:2], v[6:7], off glc
	s_waitcnt vmcnt(0)
	v_cmp_eq_u32_e32 vcc, v6, v7
	s_or_b64 s[26:27], vcc, s[26:27]
	v_mov_b32_e32 v7, v6
	s_andn2_b64 exec, exec, s[26:27]
	s_cbranch_execnz .LBB59_48
.LBB59_49:
	s_or_b64 exec, exec, s[24:25]
.LBB59_50:
	s_andn2_saveexec_b64 s[18:19], s[18:19]
	s_cbranch_execz .LBB59_52
; %bb.51:
	v_mov_b32_e32 v1, 0
	ds_read_b32 v1, v1 offset:3068
	s_waitcnt lgkmcnt(0)
	v_add_f32_e32 v8, v8, v1
.LBB59_52:
	s_or_b64 exec, exec, s[18:19]
.LBB59_53:
	s_or_b64 exec, exec, s[4:5]
	s_barrier
	ds_write_b64 v9, v[4:5]
	ds_write_b32 v10, v8
	s_waitcnt lgkmcnt(0)
	s_barrier
	s_and_saveexec_b64 s[4:5], s[0:1]
	s_cbranch_execz .LBB59_57
; %bb.54:
	ds_read_b64 v[1:2], v11
	s_waitcnt lgkmcnt(0)
	v_cmp_eq_u64_e32 vcc, v[4:5], v[1:2]
	s_and_saveexec_b64 s[0:1], vcc
	s_cbranch_execz .LBB59_56
; %bb.55:
	v_add_u32_e32 v1, -4, v10
	ds_read_b32 v1, v1
	s_waitcnt lgkmcnt(0)
	v_add_f32_e32 v8, v8, v1
.LBB59_56:
	s_or_b64 exec, exec, s[0:1]
.LBB59_57:
	s_or_b64 exec, exec, s[4:5]
	s_barrier
	ds_write_b32 v10, v8
	s_waitcnt lgkmcnt(0)
	s_barrier
	s_and_saveexec_b64 s[0:1], s[2:3]
	s_cbranch_execz .LBB59_61
; %bb.58:
	ds_read_b64 v[1:2], v12
	s_waitcnt lgkmcnt(0)
	v_cmp_eq_u64_e32 vcc, v[4:5], v[1:2]
	s_and_saveexec_b64 s[2:3], vcc
	s_cbranch_execz .LBB59_60
; %bb.59:
	v_add_u32_e32 v1, -8, v10
	ds_read_b32 v1, v1
	s_waitcnt lgkmcnt(0)
	v_add_f32_e32 v8, v8, v1
.LBB59_60:
	s_or_b64 exec, exec, s[2:3]
.LBB59_61:
	s_or_b64 exec, exec, s[0:1]
	s_barrier
	;; [unrolled: 21-line block ×3, first 2 shown]
	ds_write_b32 v10, v8
	s_waitcnt lgkmcnt(0)
	s_barrier
	s_and_saveexec_b64 s[0:1], s[6:7]
	s_cbranch_execz .LBB59_69
; %bb.66:
	ds_read_b64 v[1:2], v14
	s_waitcnt lgkmcnt(0)
	v_cmp_eq_u64_e32 vcc, v[4:5], v[1:2]
	s_and_saveexec_b64 s[2:3], vcc
	s_cbranch_execz .LBB59_68
; %bb.67:
	v_subrev_u32_e32 v1, 32, v10
	ds_read_b32 v1, v1
	s_waitcnt lgkmcnt(0)
	v_add_f32_e32 v8, v8, v1
.LBB59_68:
	s_or_b64 exec, exec, s[2:3]
.LBB59_69:
	s_or_b64 exec, exec, s[0:1]
	s_barrier
	ds_write_b32 v10, v8
	s_waitcnt lgkmcnt(0)
	s_barrier
	s_and_saveexec_b64 s[0:1], s[8:9]
	s_cbranch_execz .LBB59_73
; %bb.70:
	v_add_u32_e32 v1, 0xffffff80, v9
	ds_read_b64 v[1:2], v1
	s_waitcnt lgkmcnt(0)
	v_cmp_eq_u64_e32 vcc, v[4:5], v[1:2]
	s_and_saveexec_b64 s[2:3], vcc
	s_cbranch_execz .LBB59_72
; %bb.71:
	v_subrev_u32_e32 v1, 64, v10
	ds_read_b32 v1, v1
	s_waitcnt lgkmcnt(0)
	v_add_f32_e32 v8, v8, v1
.LBB59_72:
	s_or_b64 exec, exec, s[2:3]
.LBB59_73:
	s_or_b64 exec, exec, s[0:1]
	s_barrier
	ds_write_b32 v10, v8
	s_waitcnt lgkmcnt(0)
	s_barrier
	s_and_saveexec_b64 s[0:1], s[10:11]
	s_cbranch_execz .LBB59_77
; %bb.74:
	v_add_u32_e32 v1, 0xffffff00, v9
	ds_read_b64 v[1:2], v1
	s_waitcnt lgkmcnt(0)
	v_cmp_eq_u64_e32 vcc, v[4:5], v[1:2]
	s_and_saveexec_b64 s[2:3], vcc
	s_cbranch_execz .LBB59_76
; %bb.75:
	v_add_u32_e32 v1, 0xffffff80, v10
	ds_read_b32 v1, v1
	s_waitcnt lgkmcnt(0)
	v_add_f32_e32 v8, v8, v1
.LBB59_76:
	s_or_b64 exec, exec, s[2:3]
.LBB59_77:
	s_or_b64 exec, exec, s[0:1]
	s_barrier
	ds_write_b32 v10, v8
	s_waitcnt lgkmcnt(0)
	s_barrier
	s_and_saveexec_b64 s[0:1], s[12:13]
	s_cbranch_execz .LBB59_81
; %bb.78:
	v_add_u32_e32 v1, 0xfffffe00, v9
	ds_read_b64 v[1:2], v1
	s_waitcnt lgkmcnt(0)
	v_cmp_eq_u64_e32 vcc, v[4:5], v[1:2]
	s_and_saveexec_b64 s[2:3], vcc
	s_cbranch_execz .LBB59_80
; %bb.79:
	v_add_u32_e32 v1, 0xffffff00, v10
	ds_read_b32 v1, v1
	s_waitcnt lgkmcnt(0)
	v_add_f32_e32 v8, v8, v1
.LBB59_80:
	s_or_b64 exec, exec, s[2:3]
.LBB59_81:
	;; [unrolled: 22-line block ×3, first 2 shown]
	s_or_b64 exec, exec, s[0:1]
	s_barrier
	ds_write_b32 v10, v8
	s_waitcnt lgkmcnt(0)
	s_barrier
	s_and_saveexec_b64 s[2:3], s[16:17]
	s_cbranch_execz .LBB59_89
; %bb.86:
	ds_read_b64 v[1:2], v9 offset:8
	v_cmp_lt_i64_e64 s[0:1], -1, v[4:5]
	s_waitcnt lgkmcnt(0)
	v_cmp_ne_u64_e32 vcc, v[4:5], v[1:2]
	s_and_b64 s[0:1], s[0:1], vcc
	s_and_b64 exec, exec, s[0:1]
	s_cbranch_execz .LBB59_89
; %bb.87:
	v_lshlrev_b64 v[1:2], 2, v[4:5]
	v_mov_b32_e32 v3, s23
	v_add_co_u32_e32 v1, vcc, s22, v1
	v_addc_co_u32_e32 v2, vcc, v3, v2, vcc
	global_load_dword v7, v[1:2], off
	v_mul_f32_e32 v3, s38, v8
	s_mov_b64 s[0:1], 0
.LBB59_88:                              ; =>This Inner Loop Header: Depth=1
	s_waitcnt vmcnt(0)
	v_add_f32_e32 v6, v7, v3
	global_atomic_cmpswap v6, v[1:2], v[6:7], off glc
	s_waitcnt vmcnt(0)
	v_cmp_eq_u32_e32 vcc, v6, v7
	s_or_b64 s[0:1], vcc, s[0:1]
	v_mov_b32_e32 v7, v6
	s_andn2_b64 exec, exec, s[0:1]
	s_cbranch_execnz .LBB59_88
.LBB59_89:
	s_or_b64 exec, exec, s[2:3]
	s_movk_i32 s0, 0xff
	v_cmp_lt_i64_e32 vcc, -1, v[4:5]
	v_cmp_eq_u32_e64 s[0:1], s0, v0
	s_and_b64 s[0:1], s[0:1], vcc
	s_and_saveexec_b64 s[2:3], s[0:1]
	s_cbranch_execz .LBB59_92
; %bb.90:
	v_lshlrev_b64 v[0:1], 2, v[4:5]
	v_mov_b32_e32 v2, s23
	v_add_co_u32_e32 v0, vcc, s22, v0
	v_addc_co_u32_e32 v1, vcc, v2, v1, vcc
	global_load_dword v3, v[0:1], off
	v_mul_f32_e32 v4, s38, v8
	s_mov_b64 s[0:1], 0
.LBB59_91:                              ; =>This Inner Loop Header: Depth=1
	s_waitcnt vmcnt(0)
	v_add_f32_e32 v2, v3, v4
	global_atomic_cmpswap v2, v[0:1], v[2:3], off glc
	s_waitcnt vmcnt(0)
	v_cmp_eq_u32_e32 vcc, v2, v3
	s_or_b64 s[0:1], vcc, s[0:1]
	v_mov_b32_e32 v3, v2
	s_andn2_b64 exec, exec, s[0:1]
	s_cbranch_execnz .LBB59_91
.LBB59_92:
	s_endpgm
	.section	.rodata,"a",@progbits
	.p2align	6, 0x0
	.amdhsa_kernel _ZN9rocsparseL19coomvn_atomic_loopsILj256ELj2ElaaffEEvlNS_24const_host_device_scalarIT5_EEPKT1_S6_PKT2_PKT3_PT4_21rocsparse_index_base_b
		.amdhsa_group_segment_fixed_size 3072
		.amdhsa_private_segment_fixed_size 0
		.amdhsa_kernarg_size 64
		.amdhsa_user_sgpr_count 6
		.amdhsa_user_sgpr_private_segment_buffer 1
		.amdhsa_user_sgpr_dispatch_ptr 0
		.amdhsa_user_sgpr_queue_ptr 0
		.amdhsa_user_sgpr_kernarg_segment_ptr 1
		.amdhsa_user_sgpr_dispatch_id 0
		.amdhsa_user_sgpr_flat_scratch_init 0
		.amdhsa_user_sgpr_private_segment_size 0
		.amdhsa_uses_dynamic_stack 0
		.amdhsa_system_sgpr_private_segment_wavefront_offset 0
		.amdhsa_system_sgpr_workgroup_id_x 1
		.amdhsa_system_sgpr_workgroup_id_y 0
		.amdhsa_system_sgpr_workgroup_id_z 0
		.amdhsa_system_sgpr_workgroup_info 0
		.amdhsa_system_vgpr_workitem_id 0
		.amdhsa_next_free_vgpr 16
		.amdhsa_next_free_sgpr 42
		.amdhsa_reserve_vcc 1
		.amdhsa_reserve_flat_scratch 0
		.amdhsa_float_round_mode_32 0
		.amdhsa_float_round_mode_16_64 0
		.amdhsa_float_denorm_mode_32 3
		.amdhsa_float_denorm_mode_16_64 3
		.amdhsa_dx10_clamp 1
		.amdhsa_ieee_mode 1
		.amdhsa_fp16_overflow 0
		.amdhsa_exception_fp_ieee_invalid_op 0
		.amdhsa_exception_fp_denorm_src 0
		.amdhsa_exception_fp_ieee_div_zero 0
		.amdhsa_exception_fp_ieee_overflow 0
		.amdhsa_exception_fp_ieee_underflow 0
		.amdhsa_exception_fp_ieee_inexact 0
		.amdhsa_exception_int_div_zero 0
	.end_amdhsa_kernel
	.section	.text._ZN9rocsparseL19coomvn_atomic_loopsILj256ELj2ElaaffEEvlNS_24const_host_device_scalarIT5_EEPKT1_S6_PKT2_PKT3_PT4_21rocsparse_index_base_b,"axG",@progbits,_ZN9rocsparseL19coomvn_atomic_loopsILj256ELj2ElaaffEEvlNS_24const_host_device_scalarIT5_EEPKT1_S6_PKT2_PKT3_PT4_21rocsparse_index_base_b,comdat
.Lfunc_end59:
	.size	_ZN9rocsparseL19coomvn_atomic_loopsILj256ELj2ElaaffEEvlNS_24const_host_device_scalarIT5_EEPKT1_S6_PKT2_PKT3_PT4_21rocsparse_index_base_b, .Lfunc_end59-_ZN9rocsparseL19coomvn_atomic_loopsILj256ELj2ElaaffEEvlNS_24const_host_device_scalarIT5_EEPKT1_S6_PKT2_PKT3_PT4_21rocsparse_index_base_b
                                        ; -- End function
	.set _ZN9rocsparseL19coomvn_atomic_loopsILj256ELj2ElaaffEEvlNS_24const_host_device_scalarIT5_EEPKT1_S6_PKT2_PKT3_PT4_21rocsparse_index_base_b.num_vgpr, 16
	.set _ZN9rocsparseL19coomvn_atomic_loopsILj256ELj2ElaaffEEvlNS_24const_host_device_scalarIT5_EEPKT1_S6_PKT2_PKT3_PT4_21rocsparse_index_base_b.num_agpr, 0
	.set _ZN9rocsparseL19coomvn_atomic_loopsILj256ELj2ElaaffEEvlNS_24const_host_device_scalarIT5_EEPKT1_S6_PKT2_PKT3_PT4_21rocsparse_index_base_b.numbered_sgpr, 42
	.set _ZN9rocsparseL19coomvn_atomic_loopsILj256ELj2ElaaffEEvlNS_24const_host_device_scalarIT5_EEPKT1_S6_PKT2_PKT3_PT4_21rocsparse_index_base_b.num_named_barrier, 0
	.set _ZN9rocsparseL19coomvn_atomic_loopsILj256ELj2ElaaffEEvlNS_24const_host_device_scalarIT5_EEPKT1_S6_PKT2_PKT3_PT4_21rocsparse_index_base_b.private_seg_size, 0
	.set _ZN9rocsparseL19coomvn_atomic_loopsILj256ELj2ElaaffEEvlNS_24const_host_device_scalarIT5_EEPKT1_S6_PKT2_PKT3_PT4_21rocsparse_index_base_b.uses_vcc, 1
	.set _ZN9rocsparseL19coomvn_atomic_loopsILj256ELj2ElaaffEEvlNS_24const_host_device_scalarIT5_EEPKT1_S6_PKT2_PKT3_PT4_21rocsparse_index_base_b.uses_flat_scratch, 0
	.set _ZN9rocsparseL19coomvn_atomic_loopsILj256ELj2ElaaffEEvlNS_24const_host_device_scalarIT5_EEPKT1_S6_PKT2_PKT3_PT4_21rocsparse_index_base_b.has_dyn_sized_stack, 0
	.set _ZN9rocsparseL19coomvn_atomic_loopsILj256ELj2ElaaffEEvlNS_24const_host_device_scalarIT5_EEPKT1_S6_PKT2_PKT3_PT4_21rocsparse_index_base_b.has_recursion, 0
	.set _ZN9rocsparseL19coomvn_atomic_loopsILj256ELj2ElaaffEEvlNS_24const_host_device_scalarIT5_EEPKT1_S6_PKT2_PKT3_PT4_21rocsparse_index_base_b.has_indirect_call, 0
	.section	.AMDGPU.csdata,"",@progbits
; Kernel info:
; codeLenInByte = 2544
; TotalNumSgprs: 46
; NumVgprs: 16
; ScratchSize: 0
; MemoryBound: 0
; FloatMode: 240
; IeeeMode: 1
; LDSByteSize: 3072 bytes/workgroup (compile time only)
; SGPRBlocks: 5
; VGPRBlocks: 3
; NumSGPRsForWavesPerEU: 46
; NumVGPRsForWavesPerEU: 16
; Occupancy: 10
; WaveLimiterHint : 1
; COMPUTE_PGM_RSRC2:SCRATCH_EN: 0
; COMPUTE_PGM_RSRC2:USER_SGPR: 6
; COMPUTE_PGM_RSRC2:TRAP_HANDLER: 0
; COMPUTE_PGM_RSRC2:TGID_X_EN: 1
; COMPUTE_PGM_RSRC2:TGID_Y_EN: 0
; COMPUTE_PGM_RSRC2:TGID_Z_EN: 0
; COMPUTE_PGM_RSRC2:TIDIG_COMP_CNT: 0
	.section	.text._ZN9rocsparseL22coomvn_segmented_loopsILj256EiDF16_DF16_ffEEvlT0_NS_24const_host_device_scalarIT4_EEPKS1_S6_PKT1_PKT2_PT3_PS1_PS3_21rocsparse_index_base_b,"axG",@progbits,_ZN9rocsparseL22coomvn_segmented_loopsILj256EiDF16_DF16_ffEEvlT0_NS_24const_host_device_scalarIT4_EEPKS1_S6_PKT1_PKT2_PT3_PS1_PS3_21rocsparse_index_base_b,comdat
	.globl	_ZN9rocsparseL22coomvn_segmented_loopsILj256EiDF16_DF16_ffEEvlT0_NS_24const_host_device_scalarIT4_EEPKS1_S6_PKT1_PKT2_PT3_PS1_PS3_21rocsparse_index_base_b ; -- Begin function _ZN9rocsparseL22coomvn_segmented_loopsILj256EiDF16_DF16_ffEEvlT0_NS_24const_host_device_scalarIT4_EEPKS1_S6_PKT1_PKT2_PT3_PS1_PS3_21rocsparse_index_base_b
	.p2align	8
	.type	_ZN9rocsparseL22coomvn_segmented_loopsILj256EiDF16_DF16_ffEEvlT0_NS_24const_host_device_scalarIT4_EEPKS1_S6_PKT1_PKT2_PT3_PS1_PS3_21rocsparse_index_base_b,@function
_ZN9rocsparseL22coomvn_segmented_loopsILj256EiDF16_DF16_ffEEvlT0_NS_24const_host_device_scalarIT4_EEPKS1_S6_PKT1_PKT2_PT3_PS1_PS3_21rocsparse_index_base_b: ; @_ZN9rocsparseL22coomvn_segmented_loopsILj256EiDF16_DF16_ffEEvlT0_NS_24const_host_device_scalarIT4_EEPKS1_S6_PKT1_PKT2_PT3_PS1_PS3_21rocsparse_index_base_b
; %bb.0:
	s_load_dwordx2 s[30:31], s[4:5], 0x50
	s_load_dwordx2 s[28:29], s[4:5], 0x10
	s_waitcnt lgkmcnt(0)
	s_bitcmp1_b32 s31, 0
	s_cselect_b64 s[0:1], -1, 0
	s_and_b64 vcc, exec, s[0:1]
	s_cbranch_vccnz .LBB60_2
; %bb.1:
	s_load_dword s28, s[28:29], 0x0
.LBB60_2:
	s_waitcnt lgkmcnt(0)
	v_cmp_eq_f32_e64 s[0:1], s28, 0
	s_and_b64 vcc, exec, s[0:1]
	s_cbranch_vccnz .LBB60_89
; %bb.3:
	s_load_dword s33, s[4:5], 0x8
	s_load_dwordx2 s[34:35], s[4:5], 0x0
	s_load_dwordx8 s[36:43], s[4:5], 0x18
	v_mov_b32_e32 v2, 0
	v_mov_b32_e32 v3, -1
	s_waitcnt lgkmcnt(0)
	s_mul_i32 s0, s6, s33
	v_lshl_or_b32 v1, s0, 8, v0
	v_cmp_gt_i64_e32 vcc, s[34:35], v[1:2]
	v_lshlrev_b64 v[5:6], 2, v[1:2]
	v_lshlrev_b64 v[7:8], 1, v[1:2]
	s_and_saveexec_b64 s[0:1], vcc
	s_cbranch_execz .LBB60_5
; %bb.4:
	v_mov_b32_e32 v3, s39
	v_add_co_u32_e32 v2, vcc, s38, v5
	v_addc_co_u32_e32 v3, vcc, v3, v6, vcc
	global_load_dword v2, v[2:3], off glc slc
	v_mov_b32_e32 v4, s41
	v_add_co_u32_e32 v3, vcc, s40, v7
	v_addc_co_u32_e32 v4, vcc, v4, v8, vcc
	global_load_ushort v4, v[3:4], off
	v_mov_b32_e32 v10, s43
	s_ashr_i32 s31, s30, 31
	s_lshl_b64 s[2:3], s[30:31], 1
	v_mov_b32_e32 v11, s3
	v_mov_b32_e32 v9, s37
	s_waitcnt vmcnt(1)
	v_ashrrev_i32_e32 v3, 31, v2
	v_lshlrev_b64 v[2:3], 1, v[2:3]
	v_add_co_u32_e32 v2, vcc, s42, v2
	v_addc_co_u32_e32 v3, vcc, v10, v3, vcc
	v_subrev_co_u32_e32 v2, vcc, s2, v2
	v_subb_co_u32_e32 v3, vcc, v3, v11, vcc
	global_load_ushort v10, v[2:3], off
	v_add_co_u32_e32 v2, vcc, s36, v5
	v_addc_co_u32_e32 v3, vcc, v9, v6, vcc
	global_load_dword v2, v[2:3], off glc slc
	s_waitcnt vmcnt(2)
	v_cvt_f32_f16_e32 v4, v4
	s_waitcnt vmcnt(1)
	v_cvt_f32_f16_e32 v9, v10
	s_waitcnt vmcnt(0)
	v_subrev_u32_e32 v3, s30, v2
	v_mul_f32_e32 v2, v4, v9
.LBB60_5:
	s_or_b64 exec, exec, s[0:1]
	v_lshlrev_b32_e32 v13, 2, v0
	v_or_b32_e32 v14, 0x400, v13
	v_cmp_eq_u32_e64 s[0:1], 0, v0
	v_cmp_ne_u32_e64 s[2:3], 0, v0
	v_add_u32_e32 v15, -4, v13
	ds_write2st64_b32 v13, v3, v2 offset1:4
	s_waitcnt lgkmcnt(0)
	s_barrier
	s_and_saveexec_b64 s[8:9], s[2:3]
	s_cbranch_execz .LBB60_9
; %bb.6:
	ds_read_b32 v4, v15
	s_waitcnt lgkmcnt(0)
	v_cmp_eq_u32_e32 vcc, v3, v4
	s_and_saveexec_b64 s[10:11], vcc
	s_cbranch_execz .LBB60_8
; %bb.7:
	v_add_u32_e32 v4, -4, v14
	ds_read_b32 v4, v4
	s_waitcnt lgkmcnt(0)
	v_add_f32_e32 v2, v2, v4
.LBB60_8:
	s_or_b64 exec, exec, s[10:11]
.LBB60_9:
	s_or_b64 exec, exec, s[8:9]
	v_cmp_lt_u32_e64 s[22:23], 1, v0
	v_add_u32_e32 v16, -8, v13
	s_barrier
	ds_write_b32 v14, v2
	s_waitcnt lgkmcnt(0)
	s_barrier
	s_and_saveexec_b64 s[8:9], s[22:23]
	s_cbranch_execz .LBB60_13
; %bb.10:
	ds_read_b32 v4, v16
	s_waitcnt lgkmcnt(0)
	v_cmp_eq_u32_e32 vcc, v3, v4
	s_and_saveexec_b64 s[10:11], vcc
	s_cbranch_execz .LBB60_12
; %bb.11:
	v_add_u32_e32 v4, -8, v14
	ds_read_b32 v4, v4
	s_waitcnt lgkmcnt(0)
	v_add_f32_e32 v2, v2, v4
.LBB60_12:
	s_or_b64 exec, exec, s[10:11]
.LBB60_13:
	s_or_b64 exec, exec, s[8:9]
	v_cmp_lt_u32_e64 s[8:9], 3, v0
	v_add_u32_e32 v17, -16, v13
	s_barrier
	ds_write_b32 v14, v2
	s_waitcnt lgkmcnt(0)
	s_barrier
	s_and_saveexec_b64 s[10:11], s[8:9]
	s_cbranch_execz .LBB60_17
; %bb.14:
	ds_read_b32 v4, v17
	s_waitcnt lgkmcnt(0)
	v_cmp_eq_u32_e32 vcc, v3, v4
	s_and_saveexec_b64 s[12:13], vcc
	s_cbranch_execz .LBB60_16
; %bb.15:
	v_add_u32_e32 v4, -16, v14
	ds_read_b32 v4, v4
	s_waitcnt lgkmcnt(0)
	v_add_f32_e32 v2, v2, v4
.LBB60_16:
	s_or_b64 exec, exec, s[12:13]
.LBB60_17:
	s_or_b64 exec, exec, s[10:11]
	v_cmp_lt_u32_e64 s[10:11], 7, v0
	v_subrev_u32_e32 v18, 32, v13
	s_barrier
	ds_write_b32 v14, v2
	s_waitcnt lgkmcnt(0)
	s_barrier
	s_and_saveexec_b64 s[12:13], s[10:11]
	s_cbranch_execz .LBB60_21
; %bb.18:
	ds_read_b32 v4, v18
	s_waitcnt lgkmcnt(0)
	v_cmp_eq_u32_e32 vcc, v3, v4
	s_and_saveexec_b64 s[14:15], vcc
	s_cbranch_execz .LBB60_20
; %bb.19:
	v_subrev_u32_e32 v4, 32, v14
	ds_read_b32 v4, v4
	s_waitcnt lgkmcnt(0)
	v_add_f32_e32 v2, v2, v4
.LBB60_20:
	s_or_b64 exec, exec, s[14:15]
.LBB60_21:
	s_or_b64 exec, exec, s[12:13]
	v_cmp_lt_u32_e64 s[12:13], 15, v0
	v_subrev_u32_e32 v19, 64, v13
	s_barrier
	ds_write_b32 v14, v2
	s_waitcnt lgkmcnt(0)
	s_barrier
	s_and_saveexec_b64 s[14:15], s[12:13]
	s_cbranch_execz .LBB60_25
; %bb.22:
	ds_read_b32 v4, v19
	s_waitcnt lgkmcnt(0)
	v_cmp_eq_u32_e32 vcc, v3, v4
	s_and_saveexec_b64 s[16:17], vcc
	s_cbranch_execz .LBB60_24
; %bb.23:
	v_subrev_u32_e32 v4, 64, v14
	ds_read_b32 v4, v4
	s_waitcnt lgkmcnt(0)
	v_add_f32_e32 v2, v2, v4
.LBB60_24:
	s_or_b64 exec, exec, s[16:17]
.LBB60_25:
	s_or_b64 exec, exec, s[14:15]
	v_cmp_lt_u32_e64 s[14:15], 31, v0
	s_barrier
	ds_write_b32 v14, v2
	s_waitcnt lgkmcnt(0)
	s_barrier
	s_and_saveexec_b64 s[16:17], s[14:15]
	s_cbranch_execz .LBB60_29
; %bb.26:
	v_add_u32_e32 v4, 0xffffff80, v13
	ds_read_b32 v4, v4
	s_waitcnt lgkmcnt(0)
	v_cmp_eq_u32_e32 vcc, v3, v4
	s_and_saveexec_b64 s[18:19], vcc
	s_cbranch_execz .LBB60_28
; %bb.27:
	v_add_u32_e32 v4, 0xffffff80, v14
	ds_read_b32 v4, v4
	s_waitcnt lgkmcnt(0)
	v_add_f32_e32 v2, v2, v4
.LBB60_28:
	s_or_b64 exec, exec, s[18:19]
.LBB60_29:
	s_or_b64 exec, exec, s[16:17]
	v_cmp_lt_u32_e64 s[16:17], 63, v0
	s_barrier
	ds_write_b32 v14, v2
	s_waitcnt lgkmcnt(0)
	s_barrier
	s_and_saveexec_b64 s[18:19], s[16:17]
	s_cbranch_execz .LBB60_33
; %bb.30:
	v_add_u32_e32 v4, 0xffffff00, v13
	ds_read_b32 v4, v4
	s_waitcnt lgkmcnt(0)
	v_cmp_eq_u32_e32 vcc, v3, v4
	s_and_saveexec_b64 s[20:21], vcc
	s_cbranch_execz .LBB60_32
; %bb.31:
	v_add_u32_e32 v4, 0xffffff00, v14
	ds_read_b32 v4, v4
	s_waitcnt lgkmcnt(0)
	v_add_f32_e32 v2, v2, v4
.LBB60_32:
	s_or_b64 exec, exec, s[20:21]
.LBB60_33:
	s_or_b64 exec, exec, s[18:19]
	s_load_dwordx2 s[44:45], s[4:5], 0x38
	s_movk_i32 s7, 0x7f
	v_cmp_lt_u32_e64 s[18:19], s7, v0
	s_waitcnt lgkmcnt(0)
	s_barrier
	ds_write_b32 v14, v2
	s_waitcnt lgkmcnt(0)
	s_barrier
	s_and_saveexec_b64 s[20:21], s[18:19]
	s_cbranch_execz .LBB60_37
; %bb.34:
	v_add_u32_e32 v4, 0xfffffe00, v13
	ds_read_b32 v4, v4
	s_waitcnt lgkmcnt(0)
	v_cmp_eq_u32_e32 vcc, v3, v4
	s_and_saveexec_b64 s[24:25], vcc
	s_cbranch_execz .LBB60_36
; %bb.35:
	v_add_u32_e32 v4, 0xfffffe00, v14
	ds_read_b32 v4, v4
	s_waitcnt lgkmcnt(0)
	v_add_f32_e32 v2, v2, v4
.LBB60_36:
	s_or_b64 exec, exec, s[24:25]
.LBB60_37:
	s_or_b64 exec, exec, s[20:21]
	s_movk_i32 s7, 0xff
	v_cmp_gt_u32_e64 s[20:21], s7, v0
	s_barrier
	ds_write_b32 v14, v2
	s_waitcnt lgkmcnt(0)
	s_barrier
	s_and_saveexec_b64 s[26:27], s[20:21]
	s_cbranch_execz .LBB60_40
; %bb.38:
	ds_read_b32 v4, v13 offset:4
	v_cmp_lt_i32_e64 s[24:25], -1, v3
	s_waitcnt lgkmcnt(0)
	v_cmp_ne_u32_e32 vcc, v3, v4
	s_and_b64 s[24:25], s[24:25], vcc
	s_and_b64 exec, exec, s[24:25]
	s_cbranch_execz .LBB60_40
; %bb.39:
	v_mov_b32_e32 v4, 0
	v_lshlrev_b64 v[9:10], 2, v[3:4]
	v_mov_b32_e32 v4, s45
	v_add_co_u32_e32 v9, vcc, s44, v9
	v_addc_co_u32_e32 v10, vcc, v4, v10, vcc
	global_load_dword v4, v[9:10], off
	s_waitcnt vmcnt(0)
	v_fmac_f32_e32 v4, s28, v2
	global_store_dword v[9:10], v4, off
.LBB60_40:
	s_or_b64 exec, exec, s[26:27]
	s_load_dwordx4 s[24:27], s[4:5], 0x40
	s_cmp_lt_i32 s33, 2
	s_cbranch_scc1 .LBB60_87
; %bb.41:
	s_ashr_i32 s31, s30, 31
	s_lshl_b64 s[4:5], s[30:31], 1
	s_sub_u32 s7, s42, s4
	s_movk_i32 s4, 0x400
	v_add_co_u32_e32 v2, vcc, s4, v5
	v_addc_co_u32_e32 v3, vcc, 0, v6, vcc
	v_mov_b32_e32 v4, s39
	v_add_co_u32_e32 v5, vcc, s38, v2
	v_addc_co_u32_e32 v6, vcc, v4, v3, vcc
	v_mov_b32_e32 v4, s41
	;; [unrolled: 3-line block ×3, first 2 shown]
	v_add_co_u32_e32 v7, vcc, s36, v2
	v_addc_co_u32_e32 v8, vcc, v8, v3, vcc
	s_movk_i32 s4, 0x200
	v_add_co_u32_e32 v9, vcc, s4, v9
	v_addc_co_u32_e32 v10, vcc, 0, v4, vcc
	s_movk_i32 s4, 0x100
	v_add_co_u32_e32 v11, vcc, s4, v1
	s_subb_u32 s29, s43, s5
	v_add_u32_e32 v20, -16, v14
	v_subrev_u32_e32 v21, 32, v14
	v_subrev_u32_e32 v22, 64, v14
	v_add_u32_e32 v23, 0xffffff80, v13
	v_add_u32_e32 v24, 0xffffff80, v14
	;; [unrolled: 1-line block ×5, first 2 shown]
	v_addc_co_u32_e64 v12, s[4:5], 0, 0, vcc
	s_add_i32 s31, s33, -1
	s_mov_b32 s37, 0
	v_add_u32_e32 v1, 0xfffffe00, v14
	v_mov_b32_e32 v4, 0
	s_branch .LBB60_43
.LBB60_42:                              ;   in Loop: Header=BB60_43 Depth=1
	s_or_b64 exec, exec, s[38:39]
	v_add_co_u32_e32 v5, vcc, 0x400, v5
	v_addc_co_u32_e32 v6, vcc, 0, v6, vcc
	v_add_co_u32_e32 v9, vcc, 0x200, v9
	v_addc_co_u32_e32 v10, vcc, 0, v10, vcc
	;; [unrolled: 2-line block ×3, first 2 shown]
	v_add_co_u32_e32 v11, vcc, 0x100, v11
	s_add_i32 s31, s31, -1
	s_cmp_eq_u32 s31, 0
	v_addc_co_u32_e32 v12, vcc, 0, v12, vcc
	s_cbranch_scc1 .LBB60_87
.LBB60_43:                              ; =>This Inner Loop Header: Depth=1
	v_cmp_gt_i64_e32 vcc, s[34:35], v[11:12]
	v_mov_b32_e32 v3, -1
	v_mov_b32_e32 v2, 0
	s_and_saveexec_b64 s[4:5], vcc
	s_cbranch_execz .LBB60_45
; %bb.44:                               ;   in Loop: Header=BB60_43 Depth=1
	global_load_dword v2, v[5:6], off glc slc
	global_load_ushort v28, v[9:10], off
	v_mov_b32_e32 v29, s29
	s_waitcnt vmcnt(1)
	v_ashrrev_i32_e32 v3, 31, v2
	v_lshlrev_b64 v[2:3], 1, v[2:3]
	v_add_co_u32_e32 v2, vcc, s7, v2
	v_addc_co_u32_e32 v3, vcc, v29, v3, vcc
	global_load_ushort v29, v[2:3], off
	global_load_dword v30, v[7:8], off glc slc
	s_waitcnt vmcnt(2)
	v_cvt_f32_f16_e32 v2, v28
	s_waitcnt vmcnt(1)
	v_cvt_f32_f16_e32 v28, v29
	s_waitcnt vmcnt(0)
	v_subrev_u32_e32 v3, s30, v30
	v_mul_f32_e32 v2, v2, v28
.LBB60_45:                              ;   in Loop: Header=BB60_43 Depth=1
	s_or_b64 exec, exec, s[4:5]
	s_and_saveexec_b64 s[4:5], s[0:1]
	s_cbranch_execz .LBB60_52
; %bb.46:                               ;   in Loop: Header=BB60_43 Depth=1
	ds_read_b32 v28, v4 offset:1020
	s_waitcnt lgkmcnt(0)
	v_readfirstlane_b32 s36, v28
	v_cmp_ne_u32_e32 vcc, v3, v28
	s_and_saveexec_b64 s[38:39], vcc
	s_xor_b64 s[38:39], exec, s[38:39]
	s_cbranch_execz .LBB60_49
; %bb.47:                               ;   in Loop: Header=BB60_43 Depth=1
	s_cmp_lt_i32 s36, 0
	s_cbranch_scc1 .LBB60_49
; %bb.48:                               ;   in Loop: Header=BB60_43 Depth=1
	s_lshl_b64 s[40:41], s[36:37], 2
	s_add_u32 s40, s44, s40
	s_addc_u32 s41, s45, s41
	global_load_dword v28, v4, s[40:41]
	ds_read_b32 v29, v4 offset:2044
	s_waitcnt vmcnt(0) lgkmcnt(0)
	v_fmac_f32_e32 v28, s28, v29
	global_store_dword v4, v28, s[40:41]
.LBB60_49:                              ;   in Loop: Header=BB60_43 Depth=1
	s_andn2_saveexec_b64 s[38:39], s[38:39]
	s_cbranch_execz .LBB60_51
; %bb.50:                               ;   in Loop: Header=BB60_43 Depth=1
	ds_read_b32 v28, v4 offset:2044
	s_waitcnt lgkmcnt(0)
	v_add_f32_e32 v2, v2, v28
.LBB60_51:                              ;   in Loop: Header=BB60_43 Depth=1
	s_or_b64 exec, exec, s[38:39]
.LBB60_52:                              ;   in Loop: Header=BB60_43 Depth=1
	s_or_b64 exec, exec, s[4:5]
	s_waitcnt vmcnt(0) lgkmcnt(0)
	s_barrier
	ds_write_b32 v13, v3
	ds_write_b32 v14, v2
	s_waitcnt lgkmcnt(0)
	s_barrier
	s_and_saveexec_b64 s[4:5], s[2:3]
	s_cbranch_execz .LBB60_56
; %bb.53:                               ;   in Loop: Header=BB60_43 Depth=1
	ds_read_b32 v28, v15
	s_waitcnt lgkmcnt(0)
	v_cmp_eq_u32_e32 vcc, v3, v28
	s_and_saveexec_b64 s[38:39], vcc
	s_cbranch_execz .LBB60_55
; %bb.54:                               ;   in Loop: Header=BB60_43 Depth=1
	v_add_u32_e32 v28, -4, v14
	ds_read_b32 v28, v28
	s_waitcnt lgkmcnt(0)
	v_add_f32_e32 v2, v2, v28
.LBB60_55:                              ;   in Loop: Header=BB60_43 Depth=1
	s_or_b64 exec, exec, s[38:39]
.LBB60_56:                              ;   in Loop: Header=BB60_43 Depth=1
	s_or_b64 exec, exec, s[4:5]
	s_barrier
	ds_write_b32 v14, v2
	s_waitcnt lgkmcnt(0)
	s_barrier
	s_and_saveexec_b64 s[4:5], s[22:23]
	s_cbranch_execz .LBB60_60
; %bb.57:                               ;   in Loop: Header=BB60_43 Depth=1
	ds_read_b32 v28, v16
	s_waitcnt lgkmcnt(0)
	v_cmp_eq_u32_e32 vcc, v3, v28
	s_and_saveexec_b64 s[38:39], vcc
	s_cbranch_execz .LBB60_59
; %bb.58:                               ;   in Loop: Header=BB60_43 Depth=1
	v_add_u32_e32 v28, -8, v14
	ds_read_b32 v28, v28
	s_waitcnt lgkmcnt(0)
	v_add_f32_e32 v2, v2, v28
.LBB60_59:                              ;   in Loop: Header=BB60_43 Depth=1
	s_or_b64 exec, exec, s[38:39]
.LBB60_60:                              ;   in Loop: Header=BB60_43 Depth=1
	s_or_b64 exec, exec, s[4:5]
	s_barrier
	ds_write_b32 v14, v2
	s_waitcnt lgkmcnt(0)
	s_barrier
	s_and_saveexec_b64 s[4:5], s[8:9]
	s_cbranch_execz .LBB60_64
; %bb.61:                               ;   in Loop: Header=BB60_43 Depth=1
	ds_read_b32 v28, v17
	s_waitcnt lgkmcnt(0)
	v_cmp_eq_u32_e32 vcc, v3, v28
	s_and_saveexec_b64 s[38:39], vcc
	s_cbranch_execz .LBB60_63
; %bb.62:                               ;   in Loop: Header=BB60_43 Depth=1
	ds_read_b32 v28, v20
	s_waitcnt lgkmcnt(0)
	v_add_f32_e32 v2, v2, v28
.LBB60_63:                              ;   in Loop: Header=BB60_43 Depth=1
	s_or_b64 exec, exec, s[38:39]
.LBB60_64:                              ;   in Loop: Header=BB60_43 Depth=1
	s_or_b64 exec, exec, s[4:5]
	s_barrier
	ds_write_b32 v14, v2
	s_waitcnt lgkmcnt(0)
	s_barrier
	s_and_saveexec_b64 s[4:5], s[10:11]
	s_cbranch_execz .LBB60_68
; %bb.65:                               ;   in Loop: Header=BB60_43 Depth=1
	ds_read_b32 v28, v18
	s_waitcnt lgkmcnt(0)
	v_cmp_eq_u32_e32 vcc, v3, v28
	s_and_saveexec_b64 s[38:39], vcc
	s_cbranch_execz .LBB60_67
; %bb.66:                               ;   in Loop: Header=BB60_43 Depth=1
	ds_read_b32 v28, v21
	s_waitcnt lgkmcnt(0)
	v_add_f32_e32 v2, v2, v28
.LBB60_67:                              ;   in Loop: Header=BB60_43 Depth=1
	s_or_b64 exec, exec, s[38:39]
.LBB60_68:                              ;   in Loop: Header=BB60_43 Depth=1
	;; [unrolled: 20-line block ×6, first 2 shown]
	s_or_b64 exec, exec, s[4:5]
	s_barrier
	ds_write_b32 v14, v2
	s_waitcnt lgkmcnt(0)
	s_barrier
	s_and_saveexec_b64 s[38:39], s[20:21]
	s_cbranch_execz .LBB60_42
; %bb.85:                               ;   in Loop: Header=BB60_43 Depth=1
	ds_read_b32 v28, v13 offset:4
	v_cmp_lt_i32_e64 s[4:5], -1, v3
	s_waitcnt lgkmcnt(0)
	v_cmp_ne_u32_e32 vcc, v3, v28
	s_and_b64 s[4:5], s[4:5], vcc
	s_and_b64 exec, exec, s[4:5]
	s_cbranch_execz .LBB60_42
; %bb.86:                               ;   in Loop: Header=BB60_43 Depth=1
	v_lshlrev_b64 v[28:29], 2, v[3:4]
	v_mov_b32_e32 v30, s45
	v_add_co_u32_e32 v28, vcc, s44, v28
	v_addc_co_u32_e32 v29, vcc, v30, v29, vcc
	global_load_dword v30, v[28:29], off
	s_waitcnt vmcnt(0)
	v_fmac_f32_e32 v30, s28, v2
	global_store_dword v[28:29], v30, off
	s_branch .LBB60_42
.LBB60_87:
	s_movk_i32 s0, 0xff
	v_cmp_eq_u32_e32 vcc, s0, v0
	s_and_saveexec_b64 s[0:1], vcc
	s_cbranch_execz .LBB60_89
; %bb.88:
	s_mov_b32 s7, 0
	s_lshl_b64 s[0:1], s[6:7], 2
	s_waitcnt lgkmcnt(0)
	s_add_u32 s2, s24, s0
	s_addc_u32 s3, s25, s1
	v_mov_b32_e32 v0, 0
	s_add_u32 s0, s26, s0
	v_mul_f32_e32 v1, s28, v2
	s_addc_u32 s1, s27, s1
	global_store_dword v0, v3, s[2:3] glc slc
	global_store_dword v0, v1, s[0:1] glc slc
.LBB60_89:
	s_endpgm
	.section	.rodata,"a",@progbits
	.p2align	6, 0x0
	.amdhsa_kernel _ZN9rocsparseL22coomvn_segmented_loopsILj256EiDF16_DF16_ffEEvlT0_NS_24const_host_device_scalarIT4_EEPKS1_S6_PKT1_PKT2_PT3_PS1_PS3_21rocsparse_index_base_b
		.amdhsa_group_segment_fixed_size 2048
		.amdhsa_private_segment_fixed_size 0
		.amdhsa_kernarg_size 88
		.amdhsa_user_sgpr_count 6
		.amdhsa_user_sgpr_private_segment_buffer 1
		.amdhsa_user_sgpr_dispatch_ptr 0
		.amdhsa_user_sgpr_queue_ptr 0
		.amdhsa_user_sgpr_kernarg_segment_ptr 1
		.amdhsa_user_sgpr_dispatch_id 0
		.amdhsa_user_sgpr_flat_scratch_init 0
		.amdhsa_user_sgpr_private_segment_size 0
		.amdhsa_uses_dynamic_stack 0
		.amdhsa_system_sgpr_private_segment_wavefront_offset 0
		.amdhsa_system_sgpr_workgroup_id_x 1
		.amdhsa_system_sgpr_workgroup_id_y 0
		.amdhsa_system_sgpr_workgroup_id_z 0
		.amdhsa_system_sgpr_workgroup_info 0
		.amdhsa_system_vgpr_workitem_id 0
		.amdhsa_next_free_vgpr 31
		.amdhsa_next_free_sgpr 46
		.amdhsa_reserve_vcc 1
		.amdhsa_reserve_flat_scratch 0
		.amdhsa_float_round_mode_32 0
		.amdhsa_float_round_mode_16_64 0
		.amdhsa_float_denorm_mode_32 3
		.amdhsa_float_denorm_mode_16_64 3
		.amdhsa_dx10_clamp 1
		.amdhsa_ieee_mode 1
		.amdhsa_fp16_overflow 0
		.amdhsa_exception_fp_ieee_invalid_op 0
		.amdhsa_exception_fp_denorm_src 0
		.amdhsa_exception_fp_ieee_div_zero 0
		.amdhsa_exception_fp_ieee_overflow 0
		.amdhsa_exception_fp_ieee_underflow 0
		.amdhsa_exception_fp_ieee_inexact 0
		.amdhsa_exception_int_div_zero 0
	.end_amdhsa_kernel
	.section	.text._ZN9rocsparseL22coomvn_segmented_loopsILj256EiDF16_DF16_ffEEvlT0_NS_24const_host_device_scalarIT4_EEPKS1_S6_PKT1_PKT2_PT3_PS1_PS3_21rocsparse_index_base_b,"axG",@progbits,_ZN9rocsparseL22coomvn_segmented_loopsILj256EiDF16_DF16_ffEEvlT0_NS_24const_host_device_scalarIT4_EEPKS1_S6_PKT1_PKT2_PT3_PS1_PS3_21rocsparse_index_base_b,comdat
.Lfunc_end60:
	.size	_ZN9rocsparseL22coomvn_segmented_loopsILj256EiDF16_DF16_ffEEvlT0_NS_24const_host_device_scalarIT4_EEPKS1_S6_PKT1_PKT2_PT3_PS1_PS3_21rocsparse_index_base_b, .Lfunc_end60-_ZN9rocsparseL22coomvn_segmented_loopsILj256EiDF16_DF16_ffEEvlT0_NS_24const_host_device_scalarIT4_EEPKS1_S6_PKT1_PKT2_PT3_PS1_PS3_21rocsparse_index_base_b
                                        ; -- End function
	.set _ZN9rocsparseL22coomvn_segmented_loopsILj256EiDF16_DF16_ffEEvlT0_NS_24const_host_device_scalarIT4_EEPKS1_S6_PKT1_PKT2_PT3_PS1_PS3_21rocsparse_index_base_b.num_vgpr, 31
	.set _ZN9rocsparseL22coomvn_segmented_loopsILj256EiDF16_DF16_ffEEvlT0_NS_24const_host_device_scalarIT4_EEPKS1_S6_PKT1_PKT2_PT3_PS1_PS3_21rocsparse_index_base_b.num_agpr, 0
	.set _ZN9rocsparseL22coomvn_segmented_loopsILj256EiDF16_DF16_ffEEvlT0_NS_24const_host_device_scalarIT4_EEPKS1_S6_PKT1_PKT2_PT3_PS1_PS3_21rocsparse_index_base_b.numbered_sgpr, 46
	.set _ZN9rocsparseL22coomvn_segmented_loopsILj256EiDF16_DF16_ffEEvlT0_NS_24const_host_device_scalarIT4_EEPKS1_S6_PKT1_PKT2_PT3_PS1_PS3_21rocsparse_index_base_b.num_named_barrier, 0
	.set _ZN9rocsparseL22coomvn_segmented_loopsILj256EiDF16_DF16_ffEEvlT0_NS_24const_host_device_scalarIT4_EEPKS1_S6_PKT1_PKT2_PT3_PS1_PS3_21rocsparse_index_base_b.private_seg_size, 0
	.set _ZN9rocsparseL22coomvn_segmented_loopsILj256EiDF16_DF16_ffEEvlT0_NS_24const_host_device_scalarIT4_EEPKS1_S6_PKT1_PKT2_PT3_PS1_PS3_21rocsparse_index_base_b.uses_vcc, 1
	.set _ZN9rocsparseL22coomvn_segmented_loopsILj256EiDF16_DF16_ffEEvlT0_NS_24const_host_device_scalarIT4_EEPKS1_S6_PKT1_PKT2_PT3_PS1_PS3_21rocsparse_index_base_b.uses_flat_scratch, 0
	.set _ZN9rocsparseL22coomvn_segmented_loopsILj256EiDF16_DF16_ffEEvlT0_NS_24const_host_device_scalarIT4_EEPKS1_S6_PKT1_PKT2_PT3_PS1_PS3_21rocsparse_index_base_b.has_dyn_sized_stack, 0
	.set _ZN9rocsparseL22coomvn_segmented_loopsILj256EiDF16_DF16_ffEEvlT0_NS_24const_host_device_scalarIT4_EEPKS1_S6_PKT1_PKT2_PT3_PS1_PS3_21rocsparse_index_base_b.has_recursion, 0
	.set _ZN9rocsparseL22coomvn_segmented_loopsILj256EiDF16_DF16_ffEEvlT0_NS_24const_host_device_scalarIT4_EEPKS1_S6_PKT1_PKT2_PT3_PS1_PS3_21rocsparse_index_base_b.has_indirect_call, 0
	.section	.AMDGPU.csdata,"",@progbits
; Kernel info:
; codeLenInByte = 2504
; TotalNumSgprs: 50
; NumVgprs: 31
; ScratchSize: 0
; MemoryBound: 0
; FloatMode: 240
; IeeeMode: 1
; LDSByteSize: 2048 bytes/workgroup (compile time only)
; SGPRBlocks: 6
; VGPRBlocks: 7
; NumSGPRsForWavesPerEU: 50
; NumVGPRsForWavesPerEU: 31
; Occupancy: 8
; WaveLimiterHint : 1
; COMPUTE_PGM_RSRC2:SCRATCH_EN: 0
; COMPUTE_PGM_RSRC2:USER_SGPR: 6
; COMPUTE_PGM_RSRC2:TRAP_HANDLER: 0
; COMPUTE_PGM_RSRC2:TGID_X_EN: 1
; COMPUTE_PGM_RSRC2:TGID_Y_EN: 0
; COMPUTE_PGM_RSRC2:TGID_Z_EN: 0
; COMPUTE_PGM_RSRC2:TIDIG_COMP_CNT: 0
	.section	.text._ZN9rocsparseL13coomvt_kernelILj1024EiDF16_DF16_ffEEv20rocsparse_operation_lNS_24const_host_device_scalarIT4_EEPKT0_S7_PKT1_PKT2_PT3_21rocsparse_index_base_b,"axG",@progbits,_ZN9rocsparseL13coomvt_kernelILj1024EiDF16_DF16_ffEEv20rocsparse_operation_lNS_24const_host_device_scalarIT4_EEPKT0_S7_PKT1_PKT2_PT3_21rocsparse_index_base_b,comdat
	.globl	_ZN9rocsparseL13coomvt_kernelILj1024EiDF16_DF16_ffEEv20rocsparse_operation_lNS_24const_host_device_scalarIT4_EEPKT0_S7_PKT1_PKT2_PT3_21rocsparse_index_base_b ; -- Begin function _ZN9rocsparseL13coomvt_kernelILj1024EiDF16_DF16_ffEEv20rocsparse_operation_lNS_24const_host_device_scalarIT4_EEPKT0_S7_PKT1_PKT2_PT3_21rocsparse_index_base_b
	.p2align	8
	.type	_ZN9rocsparseL13coomvt_kernelILj1024EiDF16_DF16_ffEEv20rocsparse_operation_lNS_24const_host_device_scalarIT4_EEPKT0_S7_PKT1_PKT2_PT3_21rocsparse_index_base_b,@function
_ZN9rocsparseL13coomvt_kernelILj1024EiDF16_DF16_ffEEv20rocsparse_operation_lNS_24const_host_device_scalarIT4_EEPKT0_S7_PKT1_PKT2_PT3_21rocsparse_index_base_b: ; @_ZN9rocsparseL13coomvt_kernelILj1024EiDF16_DF16_ffEEv20rocsparse_operation_lNS_24const_host_device_scalarIT4_EEPKT0_S7_PKT1_PKT2_PT3_21rocsparse_index_base_b
; %bb.0:
	s_load_dwordx2 s[16:17], s[4:5], 0x40
	s_load_dwordx4 s[0:3], s[4:5], 0x8
	s_waitcnt lgkmcnt(0)
	s_bitcmp1_b32 s17, 0
	s_cselect_b64 s[8:9], -1, 0
	s_and_b64 vcc, exec, s[8:9]
	s_cbranch_vccnz .LBB61_2
; %bb.1:
	s_load_dword s2, s[2:3], 0x0
.LBB61_2:
	s_waitcnt lgkmcnt(0)
	v_cmp_eq_f32_e64 s[8:9], s2, 0
	s_and_b64 vcc, exec, s[8:9]
	s_cbranch_vccnz .LBB61_6
; %bb.3:
	s_load_dword s3, s[4:5], 0x54
	v_mov_b32_e32 v1, 0
	s_waitcnt lgkmcnt(0)
	s_and_b32 s3, s3, 0xffff
	s_mul_i32 s6, s6, s3
	v_add_u32_e32 v0, s6, v0
	v_cmp_gt_i64_e32 vcc, s[0:1], v[0:1]
	s_and_saveexec_b64 s[0:1], vcc
	s_cbranch_execz .LBB61_6
; %bb.4:
	s_load_dwordx8 s[8:15], s[4:5], 0x18
	v_lshlrev_b64 v[2:3], 2, v[0:1]
	v_lshlrev_b64 v[0:1], 1, v[0:1]
	s_load_dwordx2 s[0:1], s[4:5], 0x38
	s_waitcnt lgkmcnt(0)
	v_mov_b32_e32 v5, s9
	v_add_co_u32_e32 v4, vcc, s8, v2
	v_addc_co_u32_e32 v5, vcc, v5, v3, vcc
	global_load_dword v4, v[4:5], off
	v_mov_b32_e32 v5, s11
	v_add_co_u32_e32 v2, vcc, s10, v2
	v_addc_co_u32_e32 v3, vcc, v5, v3, vcc
	global_load_dword v2, v[2:3], off
	v_mov_b32_e32 v3, s13
	v_add_co_u32_e32 v0, vcc, s12, v0
	v_addc_co_u32_e32 v1, vcc, v3, v1, vcc
	global_load_ushort v7, v[0:1], off
	v_mov_b32_e32 v6, s15
	v_mov_b32_e32 v5, s1
	s_waitcnt vmcnt(2)
	v_subrev_u32_e32 v0, s16, v4
	v_ashrrev_i32_e32 v1, 31, v0
	v_lshlrev_b64 v[0:1], 1, v[0:1]
	v_add_co_u32_e32 v0, vcc, s14, v0
	s_waitcnt vmcnt(1)
	v_subrev_u32_e32 v2, s16, v2
	v_addc_co_u32_e32 v1, vcc, v6, v1, vcc
	v_ashrrev_i32_e32 v3, 31, v2
	global_load_ushort v4, v[0:1], off
	v_lshlrev_b64 v[0:1], 2, v[2:3]
	s_waitcnt vmcnt(1)
	v_cvt_f32_f16_e32 v2, v7
	v_add_co_u32_e32 v0, vcc, s0, v0
	v_addc_co_u32_e32 v1, vcc, v5, v1, vcc
	global_load_dword v3, v[0:1], off
	v_mul_f32_e32 v2, s2, v2
	s_mov_b64 s[0:1], 0
	s_waitcnt vmcnt(1)
	v_cvt_f32_f16_e32 v4, v4
	v_mul_f32_e32 v4, v2, v4
.LBB61_5:                               ; =>This Inner Loop Header: Depth=1
	s_waitcnt vmcnt(0)
	v_add_f32_e32 v2, v3, v4
	global_atomic_cmpswap v2, v[0:1], v[2:3], off glc
	s_waitcnt vmcnt(0)
	v_cmp_eq_u32_e32 vcc, v2, v3
	s_or_b64 s[0:1], vcc, s[0:1]
	v_mov_b32_e32 v3, v2
	s_andn2_b64 exec, exec, s[0:1]
	s_cbranch_execnz .LBB61_5
.LBB61_6:
	s_endpgm
	.section	.rodata,"a",@progbits
	.p2align	6, 0x0
	.amdhsa_kernel _ZN9rocsparseL13coomvt_kernelILj1024EiDF16_DF16_ffEEv20rocsparse_operation_lNS_24const_host_device_scalarIT4_EEPKT0_S7_PKT1_PKT2_PT3_21rocsparse_index_base_b
		.amdhsa_group_segment_fixed_size 0
		.amdhsa_private_segment_fixed_size 0
		.amdhsa_kernarg_size 328
		.amdhsa_user_sgpr_count 6
		.amdhsa_user_sgpr_private_segment_buffer 1
		.amdhsa_user_sgpr_dispatch_ptr 0
		.amdhsa_user_sgpr_queue_ptr 0
		.amdhsa_user_sgpr_kernarg_segment_ptr 1
		.amdhsa_user_sgpr_dispatch_id 0
		.amdhsa_user_sgpr_flat_scratch_init 0
		.amdhsa_user_sgpr_private_segment_size 0
		.amdhsa_uses_dynamic_stack 0
		.amdhsa_system_sgpr_private_segment_wavefront_offset 0
		.amdhsa_system_sgpr_workgroup_id_x 1
		.amdhsa_system_sgpr_workgroup_id_y 0
		.amdhsa_system_sgpr_workgroup_id_z 0
		.amdhsa_system_sgpr_workgroup_info 0
		.amdhsa_system_vgpr_workitem_id 0
		.amdhsa_next_free_vgpr 8
		.amdhsa_next_free_sgpr 18
		.amdhsa_reserve_vcc 1
		.amdhsa_reserve_flat_scratch 0
		.amdhsa_float_round_mode_32 0
		.amdhsa_float_round_mode_16_64 0
		.amdhsa_float_denorm_mode_32 3
		.amdhsa_float_denorm_mode_16_64 3
		.amdhsa_dx10_clamp 1
		.amdhsa_ieee_mode 1
		.amdhsa_fp16_overflow 0
		.amdhsa_exception_fp_ieee_invalid_op 0
		.amdhsa_exception_fp_denorm_src 0
		.amdhsa_exception_fp_ieee_div_zero 0
		.amdhsa_exception_fp_ieee_overflow 0
		.amdhsa_exception_fp_ieee_underflow 0
		.amdhsa_exception_fp_ieee_inexact 0
		.amdhsa_exception_int_div_zero 0
	.end_amdhsa_kernel
	.section	.text._ZN9rocsparseL13coomvt_kernelILj1024EiDF16_DF16_ffEEv20rocsparse_operation_lNS_24const_host_device_scalarIT4_EEPKT0_S7_PKT1_PKT2_PT3_21rocsparse_index_base_b,"axG",@progbits,_ZN9rocsparseL13coomvt_kernelILj1024EiDF16_DF16_ffEEv20rocsparse_operation_lNS_24const_host_device_scalarIT4_EEPKT0_S7_PKT1_PKT2_PT3_21rocsparse_index_base_b,comdat
.Lfunc_end61:
	.size	_ZN9rocsparseL13coomvt_kernelILj1024EiDF16_DF16_ffEEv20rocsparse_operation_lNS_24const_host_device_scalarIT4_EEPKT0_S7_PKT1_PKT2_PT3_21rocsparse_index_base_b, .Lfunc_end61-_ZN9rocsparseL13coomvt_kernelILj1024EiDF16_DF16_ffEEv20rocsparse_operation_lNS_24const_host_device_scalarIT4_EEPKT0_S7_PKT1_PKT2_PT3_21rocsparse_index_base_b
                                        ; -- End function
	.set _ZN9rocsparseL13coomvt_kernelILj1024EiDF16_DF16_ffEEv20rocsparse_operation_lNS_24const_host_device_scalarIT4_EEPKT0_S7_PKT1_PKT2_PT3_21rocsparse_index_base_b.num_vgpr, 8
	.set _ZN9rocsparseL13coomvt_kernelILj1024EiDF16_DF16_ffEEv20rocsparse_operation_lNS_24const_host_device_scalarIT4_EEPKT0_S7_PKT1_PKT2_PT3_21rocsparse_index_base_b.num_agpr, 0
	.set _ZN9rocsparseL13coomvt_kernelILj1024EiDF16_DF16_ffEEv20rocsparse_operation_lNS_24const_host_device_scalarIT4_EEPKT0_S7_PKT1_PKT2_PT3_21rocsparse_index_base_b.numbered_sgpr, 18
	.set _ZN9rocsparseL13coomvt_kernelILj1024EiDF16_DF16_ffEEv20rocsparse_operation_lNS_24const_host_device_scalarIT4_EEPKT0_S7_PKT1_PKT2_PT3_21rocsparse_index_base_b.num_named_barrier, 0
	.set _ZN9rocsparseL13coomvt_kernelILj1024EiDF16_DF16_ffEEv20rocsparse_operation_lNS_24const_host_device_scalarIT4_EEPKT0_S7_PKT1_PKT2_PT3_21rocsparse_index_base_b.private_seg_size, 0
	.set _ZN9rocsparseL13coomvt_kernelILj1024EiDF16_DF16_ffEEv20rocsparse_operation_lNS_24const_host_device_scalarIT4_EEPKT0_S7_PKT1_PKT2_PT3_21rocsparse_index_base_b.uses_vcc, 1
	.set _ZN9rocsparseL13coomvt_kernelILj1024EiDF16_DF16_ffEEv20rocsparse_operation_lNS_24const_host_device_scalarIT4_EEPKT0_S7_PKT1_PKT2_PT3_21rocsparse_index_base_b.uses_flat_scratch, 0
	.set _ZN9rocsparseL13coomvt_kernelILj1024EiDF16_DF16_ffEEv20rocsparse_operation_lNS_24const_host_device_scalarIT4_EEPKT0_S7_PKT1_PKT2_PT3_21rocsparse_index_base_b.has_dyn_sized_stack, 0
	.set _ZN9rocsparseL13coomvt_kernelILj1024EiDF16_DF16_ffEEv20rocsparse_operation_lNS_24const_host_device_scalarIT4_EEPKT0_S7_PKT1_PKT2_PT3_21rocsparse_index_base_b.has_recursion, 0
	.set _ZN9rocsparseL13coomvt_kernelILj1024EiDF16_DF16_ffEEv20rocsparse_operation_lNS_24const_host_device_scalarIT4_EEPKT0_S7_PKT1_PKT2_PT3_21rocsparse_index_base_b.has_indirect_call, 0
	.section	.AMDGPU.csdata,"",@progbits
; Kernel info:
; codeLenInByte = 356
; TotalNumSgprs: 22
; NumVgprs: 8
; ScratchSize: 0
; MemoryBound: 0
; FloatMode: 240
; IeeeMode: 1
; LDSByteSize: 0 bytes/workgroup (compile time only)
; SGPRBlocks: 2
; VGPRBlocks: 1
; NumSGPRsForWavesPerEU: 22
; NumVGPRsForWavesPerEU: 8
; Occupancy: 10
; WaveLimiterHint : 1
; COMPUTE_PGM_RSRC2:SCRATCH_EN: 0
; COMPUTE_PGM_RSRC2:USER_SGPR: 6
; COMPUTE_PGM_RSRC2:TRAP_HANDLER: 0
; COMPUTE_PGM_RSRC2:TGID_X_EN: 1
; COMPUTE_PGM_RSRC2:TGID_Y_EN: 0
; COMPUTE_PGM_RSRC2:TGID_Z_EN: 0
; COMPUTE_PGM_RSRC2:TIDIG_COMP_CNT: 0
	.section	.text._ZN9rocsparseL19coomvn_atomic_loopsILj256ELj1EiDF16_DF16_ffEEvlNS_24const_host_device_scalarIT5_EEPKT1_S6_PKT2_PKT3_PT4_21rocsparse_index_base_b,"axG",@progbits,_ZN9rocsparseL19coomvn_atomic_loopsILj256ELj1EiDF16_DF16_ffEEvlNS_24const_host_device_scalarIT5_EEPKT1_S6_PKT2_PKT3_PT4_21rocsparse_index_base_b,comdat
	.globl	_ZN9rocsparseL19coomvn_atomic_loopsILj256ELj1EiDF16_DF16_ffEEvlNS_24const_host_device_scalarIT5_EEPKT1_S6_PKT2_PKT3_PT4_21rocsparse_index_base_b ; -- Begin function _ZN9rocsparseL19coomvn_atomic_loopsILj256ELj1EiDF16_DF16_ffEEvlNS_24const_host_device_scalarIT5_EEPKT1_S6_PKT2_PKT3_PT4_21rocsparse_index_base_b
	.p2align	8
	.type	_ZN9rocsparseL19coomvn_atomic_loopsILj256ELj1EiDF16_DF16_ffEEvlNS_24const_host_device_scalarIT5_EEPKT1_S6_PKT2_PKT3_PT4_21rocsparse_index_base_b,@function
_ZN9rocsparseL19coomvn_atomic_loopsILj256ELj1EiDF16_DF16_ffEEvlNS_24const_host_device_scalarIT5_EEPKT1_S6_PKT2_PKT3_PT4_21rocsparse_index_base_b: ; @_ZN9rocsparseL19coomvn_atomic_loopsILj256ELj1EiDF16_DF16_ffEEvlNS_24const_host_device_scalarIT5_EEPKT1_S6_PKT2_PKT3_PT4_21rocsparse_index_base_b
; %bb.0:
	s_load_dwordx2 s[16:17], s[4:5], 0x38
	s_load_dwordx4 s[0:3], s[4:5], 0x0
	s_waitcnt lgkmcnt(0)
	s_bitcmp1_b32 s17, 0
	s_cselect_b64 s[8:9], -1, 0
	s_and_b64 vcc, exec, s[8:9]
	s_cbranch_vccnz .LBB62_2
; %bb.1:
	s_load_dword s2, s[2:3], 0x0
.LBB62_2:
	s_waitcnt lgkmcnt(0)
	v_cmp_eq_f32_e64 s[8:9], s2, 0
	s_and_b64 vcc, exec, s[8:9]
	s_cbranch_vccnz .LBB62_44
; %bb.3:
	v_lshl_or_b32 v1, s6, 8, v0
	v_mov_b32_e32 v2, 0
	v_cmp_gt_i64_e32 vcc, s[0:1], v[1:2]
	v_mov_b32_e32 v3, -1
	s_and_saveexec_b64 s[0:1], vcc
	s_cbranch_execz .LBB62_5
; %bb.4:
	s_load_dwordx8 s[8:15], s[4:5], 0x10
	v_lshlrev_b64 v[3:4], 2, v[1:2]
	v_lshlrev_b64 v[1:2], 1, v[1:2]
	s_waitcnt lgkmcnt(0)
	v_mov_b32_e32 v6, s11
	v_add_co_u32_e32 v5, vcc, s10, v3
	v_addc_co_u32_e32 v6, vcc, v6, v4, vcc
	global_load_dword v5, v[5:6], off glc slc
	v_mov_b32_e32 v7, s13
	v_add_co_u32_e32 v1, vcc, s12, v1
	v_addc_co_u32_e32 v2, vcc, v7, v2, vcc
	global_load_ushort v7, v[1:2], off
	v_mov_b32_e32 v8, s15
	v_mov_b32_e32 v6, s9
	s_waitcnt vmcnt(1)
	v_subrev_u32_e32 v1, s16, v5
	v_ashrrev_i32_e32 v2, 31, v1
	v_lshlrev_b64 v[1:2], 1, v[1:2]
	v_add_co_u32_e32 v1, vcc, s14, v1
	v_addc_co_u32_e32 v2, vcc, v8, v2, vcc
	global_load_ushort v5, v[1:2], off
	v_add_co_u32_e32 v1, vcc, s8, v3
	v_addc_co_u32_e32 v2, vcc, v6, v4, vcc
	global_load_dword v1, v[1:2], off glc slc
	s_waitcnt vmcnt(2)
	v_cvt_f32_f16_e32 v2, v7
	s_waitcnt vmcnt(1)
	v_cvt_f32_f16_e32 v4, v5
	v_mul_f32_e32 v2, v2, v4
	s_waitcnt vmcnt(0)
	v_subrev_u32_e32 v3, s16, v1
.LBB62_5:
	s_or_b64 exec, exec, s[0:1]
	v_lshlrev_b32_e32 v1, 2, v0
	v_or_b32_e32 v4, 0x400, v1
	v_cmp_ne_u32_e32 vcc, 0, v0
	ds_write2st64_b32 v1, v3, v2 offset1:4
	s_waitcnt lgkmcnt(0)
	s_barrier
	s_and_saveexec_b64 s[0:1], vcc
	s_cbranch_execz .LBB62_9
; %bb.6:
	v_add_u32_e32 v5, -4, v1
	ds_read_b32 v5, v5
	s_waitcnt lgkmcnt(0)
	v_cmp_eq_u32_e32 vcc, v3, v5
	s_and_saveexec_b64 s[6:7], vcc
	s_cbranch_execz .LBB62_8
; %bb.7:
	v_add_u32_e32 v5, -4, v4
	ds_read_b32 v5, v5
	s_waitcnt lgkmcnt(0)
	v_add_f32_e32 v2, v2, v5
.LBB62_8:
	s_or_b64 exec, exec, s[6:7]
.LBB62_9:
	s_or_b64 exec, exec, s[0:1]
	v_cmp_lt_u32_e32 vcc, 1, v0
	s_barrier
	ds_write_b32 v4, v2
	s_waitcnt lgkmcnt(0)
	s_barrier
	s_and_saveexec_b64 s[0:1], vcc
	s_cbranch_execz .LBB62_13
; %bb.10:
	v_add_u32_e32 v5, -8, v1
	ds_read_b32 v5, v5
	s_waitcnt lgkmcnt(0)
	v_cmp_eq_u32_e32 vcc, v3, v5
	s_and_saveexec_b64 s[6:7], vcc
	s_cbranch_execz .LBB62_12
; %bb.11:
	v_add_u32_e32 v5, -8, v4
	ds_read_b32 v5, v5
	s_waitcnt lgkmcnt(0)
	v_add_f32_e32 v2, v2, v5
.LBB62_12:
	s_or_b64 exec, exec, s[6:7]
.LBB62_13:
	s_or_b64 exec, exec, s[0:1]
	v_cmp_lt_u32_e32 vcc, 3, v0
	s_barrier
	ds_write_b32 v4, v2
	;; [unrolled: 23-line block ×3, first 2 shown]
	s_waitcnt lgkmcnt(0)
	s_barrier
	s_and_saveexec_b64 s[0:1], vcc
	s_cbranch_execz .LBB62_21
; %bb.18:
	v_subrev_u32_e32 v5, 32, v1
	ds_read_b32 v5, v5
	s_waitcnt lgkmcnt(0)
	v_cmp_eq_u32_e32 vcc, v3, v5
	s_and_saveexec_b64 s[6:7], vcc
	s_cbranch_execz .LBB62_20
; %bb.19:
	v_subrev_u32_e32 v5, 32, v4
	ds_read_b32 v5, v5
	s_waitcnt lgkmcnt(0)
	v_add_f32_e32 v2, v2, v5
.LBB62_20:
	s_or_b64 exec, exec, s[6:7]
.LBB62_21:
	s_or_b64 exec, exec, s[0:1]
	v_cmp_lt_u32_e32 vcc, 15, v0
	s_barrier
	ds_write_b32 v4, v2
	s_waitcnt lgkmcnt(0)
	s_barrier
	s_and_saveexec_b64 s[0:1], vcc
	s_cbranch_execz .LBB62_25
; %bb.22:
	v_subrev_u32_e32 v5, 64, v1
	ds_read_b32 v5, v5
	s_waitcnt lgkmcnt(0)
	v_cmp_eq_u32_e32 vcc, v3, v5
	s_and_saveexec_b64 s[6:7], vcc
	s_cbranch_execz .LBB62_24
; %bb.23:
	v_subrev_u32_e32 v5, 64, v4
	ds_read_b32 v5, v5
	s_waitcnt lgkmcnt(0)
	v_add_f32_e32 v2, v2, v5
.LBB62_24:
	s_or_b64 exec, exec, s[6:7]
.LBB62_25:
	s_or_b64 exec, exec, s[0:1]
	v_cmp_lt_u32_e32 vcc, 31, v0
	s_barrier
	ds_write_b32 v4, v2
	s_waitcnt lgkmcnt(0)
	s_barrier
	s_and_saveexec_b64 s[0:1], vcc
	s_cbranch_execz .LBB62_29
; %bb.26:
	v_add_u32_e32 v5, 0xffffff80, v1
	ds_read_b32 v5, v5
	s_waitcnt lgkmcnt(0)
	v_cmp_eq_u32_e32 vcc, v3, v5
	s_and_saveexec_b64 s[6:7], vcc
	s_cbranch_execz .LBB62_28
; %bb.27:
	v_add_u32_e32 v5, 0xffffff80, v4
	ds_read_b32 v5, v5
	s_waitcnt lgkmcnt(0)
	v_add_f32_e32 v2, v2, v5
.LBB62_28:
	s_or_b64 exec, exec, s[6:7]
.LBB62_29:
	s_or_b64 exec, exec, s[0:1]
	v_cmp_lt_u32_e32 vcc, 63, v0
	s_barrier
	ds_write_b32 v4, v2
	s_waitcnt lgkmcnt(0)
	s_barrier
	s_and_saveexec_b64 s[0:1], vcc
	s_cbranch_execz .LBB62_33
; %bb.30:
	v_add_u32_e32 v5, 0xffffff00, v1
	ds_read_b32 v5, v5
	s_waitcnt lgkmcnt(0)
	v_cmp_eq_u32_e32 vcc, v3, v5
	s_and_saveexec_b64 s[6:7], vcc
	s_cbranch_execz .LBB62_32
; %bb.31:
	v_add_u32_e32 v5, 0xffffff00, v4
	ds_read_b32 v5, v5
	s_waitcnt lgkmcnt(0)
	v_add_f32_e32 v2, v2, v5
.LBB62_32:
	s_or_b64 exec, exec, s[6:7]
.LBB62_33:
	s_or_b64 exec, exec, s[0:1]
	s_load_dwordx2 s[4:5], s[4:5], 0x30
	s_movk_i32 s0, 0x7f
	v_cmp_lt_u32_e32 vcc, s0, v0
	s_waitcnt lgkmcnt(0)
	s_barrier
	ds_write_b32 v4, v2
	s_waitcnt lgkmcnt(0)
	s_barrier
	s_and_saveexec_b64 s[0:1], vcc
	s_cbranch_execz .LBB62_37
; %bb.34:
	v_add_u32_e32 v5, 0xfffffe00, v1
	ds_read_b32 v5, v5
	s_waitcnt lgkmcnt(0)
	v_cmp_eq_u32_e32 vcc, v3, v5
	s_and_saveexec_b64 s[6:7], vcc
	s_cbranch_execz .LBB62_36
; %bb.35:
	v_add_u32_e32 v5, 0xfffffe00, v4
	ds_read_b32 v5, v5
	s_waitcnt lgkmcnt(0)
	v_add_f32_e32 v2, v2, v5
.LBB62_36:
	s_or_b64 exec, exec, s[6:7]
.LBB62_37:
	s_or_b64 exec, exec, s[0:1]
	s_movk_i32 s3, 0xff
	v_cmp_gt_u32_e32 vcc, s3, v0
	s_barrier
	ds_write_b32 v4, v2
	s_waitcnt lgkmcnt(0)
	s_barrier
	s_and_saveexec_b64 s[6:7], vcc
	s_cbranch_execz .LBB62_41
; %bb.38:
	ds_read_b32 v1, v1 offset:4
	v_cmp_lt_i32_e64 s[0:1], -1, v3
	s_waitcnt lgkmcnt(0)
	v_cmp_ne_u32_e32 vcc, v3, v1
	s_and_b64 s[0:1], s[0:1], vcc
	s_and_b64 exec, exec, s[0:1]
	s_cbranch_execz .LBB62_41
; %bb.39:
	v_mov_b32_e32 v4, 0
	v_lshlrev_b64 v[4:5], 2, v[3:4]
	v_mov_b32_e32 v1, s5
	v_add_co_u32_e32 v4, vcc, s4, v4
	v_addc_co_u32_e32 v5, vcc, v1, v5, vcc
	global_load_dword v7, v[4:5], off
	v_mul_f32_e32 v1, s2, v2
	s_mov_b64 s[0:1], 0
.LBB62_40:                              ; =>This Inner Loop Header: Depth=1
	s_waitcnt vmcnt(0)
	v_add_f32_e32 v6, v7, v1
	global_atomic_cmpswap v6, v[4:5], v[6:7], off glc
	s_waitcnt vmcnt(0)
	v_cmp_eq_u32_e32 vcc, v6, v7
	s_or_b64 s[0:1], vcc, s[0:1]
	v_mov_b32_e32 v7, v6
	s_andn2_b64 exec, exec, s[0:1]
	s_cbranch_execnz .LBB62_40
.LBB62_41:
	s_or_b64 exec, exec, s[6:7]
	v_cmp_eq_u32_e32 vcc, s3, v0
	v_cmp_lt_i32_e64 s[0:1], -1, v3
	s_and_b64 s[0:1], vcc, s[0:1]
	s_and_saveexec_b64 s[6:7], s[0:1]
	s_cbranch_execz .LBB62_44
; %bb.42:
	v_mov_b32_e32 v4, 0
	v_lshlrev_b64 v[0:1], 2, v[3:4]
	v_mov_b32_e32 v3, s5
	v_add_co_u32_e32 v0, vcc, s4, v0
	v_addc_co_u32_e32 v1, vcc, v3, v1, vcc
	global_load_dword v3, v[0:1], off
	v_mul_f32_e32 v4, s2, v2
	s_mov_b64 s[0:1], 0
.LBB62_43:                              ; =>This Inner Loop Header: Depth=1
	s_waitcnt vmcnt(0)
	v_add_f32_e32 v2, v3, v4
	global_atomic_cmpswap v2, v[0:1], v[2:3], off glc
	s_waitcnt vmcnt(0)
	v_cmp_eq_u32_e32 vcc, v2, v3
	s_or_b64 s[0:1], vcc, s[0:1]
	v_mov_b32_e32 v3, v2
	s_andn2_b64 exec, exec, s[0:1]
	s_cbranch_execnz .LBB62_43
.LBB62_44:
	s_endpgm
	.section	.rodata,"a",@progbits
	.p2align	6, 0x0
	.amdhsa_kernel _ZN9rocsparseL19coomvn_atomic_loopsILj256ELj1EiDF16_DF16_ffEEvlNS_24const_host_device_scalarIT5_EEPKT1_S6_PKT2_PKT3_PT4_21rocsparse_index_base_b
		.amdhsa_group_segment_fixed_size 2048
		.amdhsa_private_segment_fixed_size 0
		.amdhsa_kernarg_size 64
		.amdhsa_user_sgpr_count 6
		.amdhsa_user_sgpr_private_segment_buffer 1
		.amdhsa_user_sgpr_dispatch_ptr 0
		.amdhsa_user_sgpr_queue_ptr 0
		.amdhsa_user_sgpr_kernarg_segment_ptr 1
		.amdhsa_user_sgpr_dispatch_id 0
		.amdhsa_user_sgpr_flat_scratch_init 0
		.amdhsa_user_sgpr_private_segment_size 0
		.amdhsa_uses_dynamic_stack 0
		.amdhsa_system_sgpr_private_segment_wavefront_offset 0
		.amdhsa_system_sgpr_workgroup_id_x 1
		.amdhsa_system_sgpr_workgroup_id_y 0
		.amdhsa_system_sgpr_workgroup_id_z 0
		.amdhsa_system_sgpr_workgroup_info 0
		.amdhsa_system_vgpr_workitem_id 0
		.amdhsa_next_free_vgpr 9
		.amdhsa_next_free_sgpr 18
		.amdhsa_reserve_vcc 1
		.amdhsa_reserve_flat_scratch 0
		.amdhsa_float_round_mode_32 0
		.amdhsa_float_round_mode_16_64 0
		.amdhsa_float_denorm_mode_32 3
		.amdhsa_float_denorm_mode_16_64 3
		.amdhsa_dx10_clamp 1
		.amdhsa_ieee_mode 1
		.amdhsa_fp16_overflow 0
		.amdhsa_exception_fp_ieee_invalid_op 0
		.amdhsa_exception_fp_denorm_src 0
		.amdhsa_exception_fp_ieee_div_zero 0
		.amdhsa_exception_fp_ieee_overflow 0
		.amdhsa_exception_fp_ieee_underflow 0
		.amdhsa_exception_fp_ieee_inexact 0
		.amdhsa_exception_int_div_zero 0
	.end_amdhsa_kernel
	.section	.text._ZN9rocsparseL19coomvn_atomic_loopsILj256ELj1EiDF16_DF16_ffEEvlNS_24const_host_device_scalarIT5_EEPKT1_S6_PKT2_PKT3_PT4_21rocsparse_index_base_b,"axG",@progbits,_ZN9rocsparseL19coomvn_atomic_loopsILj256ELj1EiDF16_DF16_ffEEvlNS_24const_host_device_scalarIT5_EEPKT1_S6_PKT2_PKT3_PT4_21rocsparse_index_base_b,comdat
.Lfunc_end62:
	.size	_ZN9rocsparseL19coomvn_atomic_loopsILj256ELj1EiDF16_DF16_ffEEvlNS_24const_host_device_scalarIT5_EEPKT1_S6_PKT2_PKT3_PT4_21rocsparse_index_base_b, .Lfunc_end62-_ZN9rocsparseL19coomvn_atomic_loopsILj256ELj1EiDF16_DF16_ffEEvlNS_24const_host_device_scalarIT5_EEPKT1_S6_PKT2_PKT3_PT4_21rocsparse_index_base_b
                                        ; -- End function
	.set _ZN9rocsparseL19coomvn_atomic_loopsILj256ELj1EiDF16_DF16_ffEEvlNS_24const_host_device_scalarIT5_EEPKT1_S6_PKT2_PKT3_PT4_21rocsparse_index_base_b.num_vgpr, 9
	.set _ZN9rocsparseL19coomvn_atomic_loopsILj256ELj1EiDF16_DF16_ffEEvlNS_24const_host_device_scalarIT5_EEPKT1_S6_PKT2_PKT3_PT4_21rocsparse_index_base_b.num_agpr, 0
	.set _ZN9rocsparseL19coomvn_atomic_loopsILj256ELj1EiDF16_DF16_ffEEvlNS_24const_host_device_scalarIT5_EEPKT1_S6_PKT2_PKT3_PT4_21rocsparse_index_base_b.numbered_sgpr, 18
	.set _ZN9rocsparseL19coomvn_atomic_loopsILj256ELj1EiDF16_DF16_ffEEvlNS_24const_host_device_scalarIT5_EEPKT1_S6_PKT2_PKT3_PT4_21rocsparse_index_base_b.num_named_barrier, 0
	.set _ZN9rocsparseL19coomvn_atomic_loopsILj256ELj1EiDF16_DF16_ffEEvlNS_24const_host_device_scalarIT5_EEPKT1_S6_PKT2_PKT3_PT4_21rocsparse_index_base_b.private_seg_size, 0
	.set _ZN9rocsparseL19coomvn_atomic_loopsILj256ELj1EiDF16_DF16_ffEEvlNS_24const_host_device_scalarIT5_EEPKT1_S6_PKT2_PKT3_PT4_21rocsparse_index_base_b.uses_vcc, 1
	.set _ZN9rocsparseL19coomvn_atomic_loopsILj256ELj1EiDF16_DF16_ffEEvlNS_24const_host_device_scalarIT5_EEPKT1_S6_PKT2_PKT3_PT4_21rocsparse_index_base_b.uses_flat_scratch, 0
	.set _ZN9rocsparseL19coomvn_atomic_loopsILj256ELj1EiDF16_DF16_ffEEvlNS_24const_host_device_scalarIT5_EEPKT1_S6_PKT2_PKT3_PT4_21rocsparse_index_base_b.has_dyn_sized_stack, 0
	.set _ZN9rocsparseL19coomvn_atomic_loopsILj256ELj1EiDF16_DF16_ffEEvlNS_24const_host_device_scalarIT5_EEPKT1_S6_PKT2_PKT3_PT4_21rocsparse_index_base_b.has_recursion, 0
	.set _ZN9rocsparseL19coomvn_atomic_loopsILj256ELj1EiDF16_DF16_ffEEvlNS_24const_host_device_scalarIT5_EEPKT1_S6_PKT2_PKT3_PT4_21rocsparse_index_base_b.has_indirect_call, 0
	.section	.AMDGPU.csdata,"",@progbits
; Kernel info:
; codeLenInByte = 1268
; TotalNumSgprs: 22
; NumVgprs: 9
; ScratchSize: 0
; MemoryBound: 0
; FloatMode: 240
; IeeeMode: 1
; LDSByteSize: 2048 bytes/workgroup (compile time only)
; SGPRBlocks: 2
; VGPRBlocks: 2
; NumSGPRsForWavesPerEU: 22
; NumVGPRsForWavesPerEU: 9
; Occupancy: 10
; WaveLimiterHint : 1
; COMPUTE_PGM_RSRC2:SCRATCH_EN: 0
; COMPUTE_PGM_RSRC2:USER_SGPR: 6
; COMPUTE_PGM_RSRC2:TRAP_HANDLER: 0
; COMPUTE_PGM_RSRC2:TGID_X_EN: 1
; COMPUTE_PGM_RSRC2:TGID_Y_EN: 0
; COMPUTE_PGM_RSRC2:TGID_Z_EN: 0
; COMPUTE_PGM_RSRC2:TIDIG_COMP_CNT: 0
	.section	.text._ZN9rocsparseL19coomvn_atomic_loopsILj256ELj2EiDF16_DF16_ffEEvlNS_24const_host_device_scalarIT5_EEPKT1_S6_PKT2_PKT3_PT4_21rocsparse_index_base_b,"axG",@progbits,_ZN9rocsparseL19coomvn_atomic_loopsILj256ELj2EiDF16_DF16_ffEEvlNS_24const_host_device_scalarIT5_EEPKT1_S6_PKT2_PKT3_PT4_21rocsparse_index_base_b,comdat
	.globl	_ZN9rocsparseL19coomvn_atomic_loopsILj256ELj2EiDF16_DF16_ffEEvlNS_24const_host_device_scalarIT5_EEPKT1_S6_PKT2_PKT3_PT4_21rocsparse_index_base_b ; -- Begin function _ZN9rocsparseL19coomvn_atomic_loopsILj256ELj2EiDF16_DF16_ffEEvlNS_24const_host_device_scalarIT5_EEPKT1_S6_PKT2_PKT3_PT4_21rocsparse_index_base_b
	.p2align	8
	.type	_ZN9rocsparseL19coomvn_atomic_loopsILj256ELj2EiDF16_DF16_ffEEvlNS_24const_host_device_scalarIT5_EEPKT1_S6_PKT2_PKT3_PT4_21rocsparse_index_base_b,@function
_ZN9rocsparseL19coomvn_atomic_loopsILj256ELj2EiDF16_DF16_ffEEvlNS_24const_host_device_scalarIT5_EEPKT1_S6_PKT2_PKT3_PT4_21rocsparse_index_base_b: ; @_ZN9rocsparseL19coomvn_atomic_loopsILj256ELj2EiDF16_DF16_ffEEvlNS_24const_host_device_scalarIT5_EEPKT1_S6_PKT2_PKT3_PT4_21rocsparse_index_base_b
; %bb.0:
	s_load_dwordx2 s[34:35], s[4:5], 0x38
	s_load_dwordx4 s[36:39], s[4:5], 0x0
	s_waitcnt lgkmcnt(0)
	s_bitcmp1_b32 s35, 0
	s_cselect_b64 s[0:1], -1, 0
	s_and_b64 vcc, exec, s[0:1]
	s_cbranch_vccnz .LBB63_2
; %bb.1:
	s_load_dword s38, s[38:39], 0x0
.LBB63_2:
	s_waitcnt lgkmcnt(0)
	v_cmp_eq_f32_e64 s[0:1], s38, 0
	s_and_b64 vcc, exec, s[0:1]
	s_cbranch_vccnz .LBB63_92
; %bb.3:
	s_load_dwordx8 s[24:31], s[4:5], 0x10
	v_lshl_or_b32 v5, s6, 9, v0
	v_mov_b32_e32 v6, 0
	v_cmp_gt_i64_e32 vcc, s[36:37], v[5:6]
	v_lshlrev_b64 v[1:2], 2, v[5:6]
	v_lshlrev_b64 v[3:4], 1, v[5:6]
	v_mov_b32_e32 v7, -1
	s_and_saveexec_b64 s[0:1], vcc
	s_cbranch_execz .LBB63_5
; %bb.4:
	s_waitcnt lgkmcnt(0)
	v_mov_b32_e32 v7, s27
	v_add_co_u32_e32 v6, vcc, s26, v1
	v_addc_co_u32_e32 v7, vcc, v7, v2, vcc
	global_load_dword v8, v[6:7], off glc slc
	v_mov_b32_e32 v7, s29
	v_add_co_u32_e32 v6, vcc, s28, v3
	v_addc_co_u32_e32 v7, vcc, v7, v4, vcc
	global_load_ushort v11, v[6:7], off
	v_mov_b32_e32 v10, s31
	v_mov_b32_e32 v9, s25
	s_waitcnt vmcnt(1)
	v_subrev_u32_e32 v6, s34, v8
	v_ashrrev_i32_e32 v7, 31, v6
	v_lshlrev_b64 v[6:7], 1, v[6:7]
	v_add_co_u32_e32 v6, vcc, s30, v6
	v_addc_co_u32_e32 v7, vcc, v10, v7, vcc
	global_load_ushort v8, v[6:7], off
	v_add_co_u32_e32 v6, vcc, s24, v1
	v_addc_co_u32_e32 v7, vcc, v9, v2, vcc
	global_load_dword v6, v[6:7], off glc slc
	s_waitcnt vmcnt(2)
	v_cvt_f32_f16_e32 v9, v11
	s_waitcnt vmcnt(1)
	v_cvt_f32_f16_e32 v8, v8
	s_waitcnt vmcnt(0)
	v_subrev_u32_e32 v7, s34, v6
	v_mul_f32_e32 v6, v9, v8
.LBB63_5:
	s_or_b64 exec, exec, s[0:1]
	v_lshlrev_b32_e32 v11, 2, v0
	v_or_b32_e32 v12, 0x400, v11
	v_cmp_eq_u32_e64 s[18:19], 0, v0
	v_cmp_ne_u32_e64 s[0:1], 0, v0
	v_add_u32_e32 v13, -4, v11
	ds_write2st64_b32 v11, v7, v6 offset1:4
	s_waitcnt lgkmcnt(0)
	s_barrier
	s_and_saveexec_b64 s[2:3], s[0:1]
	s_cbranch_execz .LBB63_9
; %bb.6:
	ds_read_b32 v8, v13
	s_waitcnt lgkmcnt(0)
	v_cmp_eq_u32_e32 vcc, v7, v8
	s_and_saveexec_b64 s[6:7], vcc
	s_cbranch_execz .LBB63_8
; %bb.7:
	v_add_u32_e32 v8, -4, v12
	ds_read_b32 v8, v8
	s_waitcnt lgkmcnt(0)
	v_add_f32_e32 v6, v6, v8
.LBB63_8:
	s_or_b64 exec, exec, s[6:7]
.LBB63_9:
	s_or_b64 exec, exec, s[2:3]
	v_cmp_lt_u32_e64 s[2:3], 1, v0
	v_add_u32_e32 v14, -8, v11
	s_barrier
	ds_write_b32 v12, v6
	s_waitcnt lgkmcnt(0)
	s_barrier
	s_and_saveexec_b64 s[6:7], s[2:3]
	s_cbranch_execz .LBB63_13
; %bb.10:
	ds_read_b32 v8, v14
	s_waitcnt lgkmcnt(0)
	v_cmp_eq_u32_e32 vcc, v7, v8
	s_and_saveexec_b64 s[8:9], vcc
	s_cbranch_execz .LBB63_12
; %bb.11:
	v_add_u32_e32 v8, -8, v12
	ds_read_b32 v8, v8
	s_waitcnt lgkmcnt(0)
	v_add_f32_e32 v6, v6, v8
.LBB63_12:
	s_or_b64 exec, exec, s[8:9]
.LBB63_13:
	s_or_b64 exec, exec, s[6:7]
	v_cmp_lt_u32_e64 s[20:21], 3, v0
	v_add_u32_e32 v15, -16, v11
	s_barrier
	ds_write_b32 v12, v6
	s_waitcnt lgkmcnt(0)
	s_barrier
	s_and_saveexec_b64 s[6:7], s[20:21]
	s_cbranch_execz .LBB63_17
; %bb.14:
	ds_read_b32 v8, v15
	s_waitcnt lgkmcnt(0)
	v_cmp_eq_u32_e32 vcc, v7, v8
	s_and_saveexec_b64 s[8:9], vcc
	s_cbranch_execz .LBB63_16
; %bb.15:
	v_add_u32_e32 v8, -16, v12
	ds_read_b32 v8, v8
	s_waitcnt lgkmcnt(0)
	v_add_f32_e32 v6, v6, v8
.LBB63_16:
	s_or_b64 exec, exec, s[8:9]
.LBB63_17:
	s_or_b64 exec, exec, s[6:7]
	v_cmp_lt_u32_e64 s[6:7], 7, v0
	v_subrev_u32_e32 v16, 32, v11
	s_barrier
	ds_write_b32 v12, v6
	s_waitcnt lgkmcnt(0)
	s_barrier
	s_and_saveexec_b64 s[8:9], s[6:7]
	s_cbranch_execz .LBB63_21
; %bb.18:
	ds_read_b32 v8, v16
	s_waitcnt lgkmcnt(0)
	v_cmp_eq_u32_e32 vcc, v7, v8
	s_and_saveexec_b64 s[10:11], vcc
	s_cbranch_execz .LBB63_20
; %bb.19:
	v_subrev_u32_e32 v8, 32, v12
	ds_read_b32 v8, v8
	s_waitcnt lgkmcnt(0)
	v_add_f32_e32 v6, v6, v8
.LBB63_20:
	s_or_b64 exec, exec, s[10:11]
.LBB63_21:
	s_or_b64 exec, exec, s[8:9]
	v_cmp_lt_u32_e64 s[8:9], 15, v0
	v_subrev_u32_e32 v17, 64, v11
	s_barrier
	ds_write_b32 v12, v6
	s_waitcnt lgkmcnt(0)
	s_barrier
	s_and_saveexec_b64 s[10:11], s[8:9]
	s_cbranch_execz .LBB63_25
; %bb.22:
	ds_read_b32 v8, v17
	s_waitcnt lgkmcnt(0)
	v_cmp_eq_u32_e32 vcc, v7, v8
	s_and_saveexec_b64 s[12:13], vcc
	s_cbranch_execz .LBB63_24
; %bb.23:
	v_subrev_u32_e32 v8, 64, v12
	ds_read_b32 v8, v8
	s_waitcnt lgkmcnt(0)
	v_add_f32_e32 v6, v6, v8
.LBB63_24:
	s_or_b64 exec, exec, s[12:13]
.LBB63_25:
	s_or_b64 exec, exec, s[10:11]
	v_cmp_lt_u32_e64 s[10:11], 31, v0
	s_barrier
	ds_write_b32 v12, v6
	s_waitcnt lgkmcnt(0)
	s_barrier
	s_and_saveexec_b64 s[12:13], s[10:11]
	s_cbranch_execz .LBB63_29
; %bb.26:
	v_add_u32_e32 v8, 0xffffff80, v11
	ds_read_b32 v8, v8
	s_waitcnt lgkmcnt(0)
	v_cmp_eq_u32_e32 vcc, v7, v8
	s_and_saveexec_b64 s[14:15], vcc
	s_cbranch_execz .LBB63_28
; %bb.27:
	v_add_u32_e32 v8, 0xffffff80, v12
	ds_read_b32 v8, v8
	s_waitcnt lgkmcnt(0)
	v_add_f32_e32 v6, v6, v8
.LBB63_28:
	s_or_b64 exec, exec, s[14:15]
.LBB63_29:
	s_or_b64 exec, exec, s[12:13]
	v_cmp_lt_u32_e64 s[12:13], 63, v0
	s_barrier
	ds_write_b32 v12, v6
	s_waitcnt lgkmcnt(0)
	s_barrier
	s_and_saveexec_b64 s[14:15], s[12:13]
	s_cbranch_execz .LBB63_33
; %bb.30:
	v_add_u32_e32 v8, 0xffffff00, v11
	ds_read_b32 v8, v8
	s_waitcnt lgkmcnt(0)
	v_cmp_eq_u32_e32 vcc, v7, v8
	s_and_saveexec_b64 s[16:17], vcc
	s_cbranch_execz .LBB63_32
; %bb.31:
	v_add_u32_e32 v8, 0xffffff00, v12
	ds_read_b32 v8, v8
	s_waitcnt lgkmcnt(0)
	v_add_f32_e32 v6, v6, v8
.LBB63_32:
	s_or_b64 exec, exec, s[16:17]
.LBB63_33:
	s_or_b64 exec, exec, s[14:15]
	s_load_dwordx2 s[22:23], s[4:5], 0x30
	s_movk_i32 s4, 0x7f
	v_cmp_lt_u32_e64 s[14:15], s4, v0
	s_waitcnt lgkmcnt(0)
	s_barrier
	ds_write_b32 v12, v6
	s_waitcnt lgkmcnt(0)
	s_barrier
	s_and_saveexec_b64 s[4:5], s[14:15]
	s_cbranch_execz .LBB63_37
; %bb.34:
	v_add_u32_e32 v8, 0xfffffe00, v11
	ds_read_b32 v8, v8
	s_waitcnt lgkmcnt(0)
	v_cmp_eq_u32_e32 vcc, v7, v8
	s_and_saveexec_b64 s[16:17], vcc
	s_cbranch_execz .LBB63_36
; %bb.35:
	v_add_u32_e32 v8, 0xfffffe00, v12
	ds_read_b32 v8, v8
	s_waitcnt lgkmcnt(0)
	v_add_f32_e32 v6, v6, v8
.LBB63_36:
	s_or_b64 exec, exec, s[16:17]
.LBB63_37:
	s_or_b64 exec, exec, s[4:5]
	s_movk_i32 s4, 0xff
	v_cmp_gt_u32_e64 s[16:17], s4, v0
	s_barrier
	ds_write_b32 v12, v6
	s_waitcnt lgkmcnt(0)
	s_barrier
	s_and_saveexec_b64 s[40:41], s[16:17]
	s_cbranch_execz .LBB63_41
; %bb.38:
	ds_read_b32 v8, v11 offset:4
	v_cmp_lt_i32_e64 s[4:5], -1, v7
	s_waitcnt lgkmcnt(0)
	v_cmp_ne_u32_e32 vcc, v7, v8
	s_and_b64 s[4:5], s[4:5], vcc
	s_and_b64 exec, exec, s[4:5]
	s_cbranch_execz .LBB63_41
; %bb.39:
	v_mov_b32_e32 v8, 0
	v_lshlrev_b64 v[7:8], 2, v[7:8]
	v_mov_b32_e32 v9, s23
	v_add_co_u32_e32 v7, vcc, s22, v7
	v_addc_co_u32_e32 v8, vcc, v9, v8, vcc
	global_load_dword v10, v[7:8], off
	v_mul_f32_e32 v6, s38, v6
	s_mov_b64 s[4:5], 0
.LBB63_40:                              ; =>This Inner Loop Header: Depth=1
	s_waitcnt vmcnt(0)
	v_add_f32_e32 v9, v10, v6
	global_atomic_cmpswap v9, v[7:8], v[9:10], off glc
	s_waitcnt vmcnt(0)
	v_cmp_eq_u32_e32 vcc, v9, v10
	s_or_b64 s[4:5], vcc, s[4:5]
	v_mov_b32_e32 v10, v9
	s_andn2_b64 exec, exec, s[4:5]
	s_cbranch_execnz .LBB63_40
.LBB63_41:
	s_or_b64 exec, exec, s[40:41]
	v_add_co_u32_e32 v5, vcc, 0x100, v5
	v_addc_co_u32_e64 v6, s[4:5], 0, 0, vcc
	v_cmp_gt_i64_e32 vcc, s[36:37], v[5:6]
	v_mov_b32_e32 v5, -1
	v_mov_b32_e32 v7, 0
	s_and_saveexec_b64 s[4:5], vcc
	s_cbranch_execz .LBB63_43
; %bb.42:
	v_mov_b32_e32 v6, s27
	v_add_co_u32_e32 v5, vcc, s26, v1
	v_addc_co_u32_e32 v6, vcc, v6, v2, vcc
	global_load_dword v5, v[5:6], off offset:1024 glc slc
	v_mov_b32_e32 v7, s29
	v_add_co_u32_e32 v3, vcc, s28, v3
	v_addc_co_u32_e32 v4, vcc, v7, v4, vcc
	global_load_ushort v7, v[3:4], off offset:512
	v_mov_b32_e32 v8, s31
	v_mov_b32_e32 v6, s25
	s_waitcnt vmcnt(1)
	v_subrev_u32_e32 v3, s34, v5
	v_ashrrev_i32_e32 v4, 31, v3
	v_lshlrev_b64 v[3:4], 1, v[3:4]
	v_add_co_u32_e32 v3, vcc, s30, v3
	v_addc_co_u32_e32 v4, vcc, v8, v4, vcc
	global_load_ushort v3, v[3:4], off
	v_add_co_u32_e32 v1, vcc, s24, v1
	v_addc_co_u32_e32 v2, vcc, v6, v2, vcc
	global_load_dword v1, v[1:2], off offset:1024 glc slc
	s_waitcnt vmcnt(2)
	v_cvt_f32_f16_e32 v2, v7
	s_waitcnt vmcnt(1)
	v_cvt_f32_f16_e32 v3, v3
	v_mul_f32_e32 v7, v2, v3
	s_waitcnt vmcnt(0)
	v_subrev_u32_e32 v5, s34, v1
.LBB63_43:
	s_or_b64 exec, exec, s[4:5]
	s_and_saveexec_b64 s[4:5], s[18:19]
	s_cbranch_execz .LBB63_53
; %bb.44:
	v_mov_b32_e32 v1, 0
	ds_read_b32 v1, v1 offset:1020
	s_waitcnt lgkmcnt(0)
	v_readfirstlane_b32 s26, v1
	v_cmp_ne_u32_e32 vcc, v5, v1
	s_and_saveexec_b64 s[18:19], vcc
	s_xor_b64 s[18:19], exec, s[18:19]
	s_cbranch_execz .LBB63_50
; %bb.45:
	s_cmp_lt_i32 s26, 0
	s_cbranch_scc1 .LBB63_50
; %bb.46:
	s_mov_b64 s[28:29], exec
	v_mbcnt_lo_u32_b32 v1, s28, 0
	v_mbcnt_hi_u32_b32 v1, s29, v1
	v_cmp_eq_u32_e32 vcc, 0, v1
	s_and_saveexec_b64 s[24:25], vcc
	s_cbranch_execz .LBB63_49
; %bb.47:
	s_mov_b32 s27, 0
	s_lshl_b64 s[26:27], s[26:27], 2
	s_add_u32 s26, s22, s26
	s_addc_u32 s27, s23, s27
	v_mov_b32_e32 v3, 0
	global_load_dword v2, v3, s[26:27]
	ds_read_b32 v1, v3 offset:2044
	s_bcnt1_i32_b64 s28, s[28:29]
	v_cvt_f32_ubyte0_e32 v4, s28
	s_mov_b64 s[28:29], 0
	s_waitcnt lgkmcnt(0)
	v_mul_f32_e32 v1, s38, v1
	v_mul_f32_e32 v4, v1, v4
.LBB63_48:                              ; =>This Inner Loop Header: Depth=1
	s_waitcnt vmcnt(0)
	v_add_f32_e32 v1, v2, v4
	global_atomic_cmpswap v1, v3, v[1:2], s[26:27] glc
	s_waitcnt vmcnt(0)
	v_cmp_eq_u32_e32 vcc, v1, v2
	s_or_b64 s[28:29], vcc, s[28:29]
	v_mov_b32_e32 v2, v1
	s_andn2_b64 exec, exec, s[28:29]
	s_cbranch_execnz .LBB63_48
.LBB63_49:
	s_or_b64 exec, exec, s[24:25]
.LBB63_50:
	s_andn2_saveexec_b64 s[18:19], s[18:19]
	s_cbranch_execz .LBB63_52
; %bb.51:
	v_mov_b32_e32 v1, 0
	ds_read_b32 v1, v1 offset:2044
	s_waitcnt lgkmcnt(0)
	v_add_f32_e32 v7, v7, v1
.LBB63_52:
	s_or_b64 exec, exec, s[18:19]
.LBB63_53:
	s_or_b64 exec, exec, s[4:5]
	s_barrier
	ds_write_b32 v11, v5
	ds_write_b32 v12, v7
	s_waitcnt lgkmcnt(0)
	s_barrier
	s_and_saveexec_b64 s[4:5], s[0:1]
	s_cbranch_execz .LBB63_57
; %bb.54:
	ds_read_b32 v1, v13
	s_waitcnt lgkmcnt(0)
	v_cmp_eq_u32_e32 vcc, v5, v1
	s_and_saveexec_b64 s[0:1], vcc
	s_cbranch_execz .LBB63_56
; %bb.55:
	v_add_u32_e32 v1, -4, v12
	ds_read_b32 v1, v1
	s_waitcnt lgkmcnt(0)
	v_add_f32_e32 v7, v7, v1
.LBB63_56:
	s_or_b64 exec, exec, s[0:1]
.LBB63_57:
	s_or_b64 exec, exec, s[4:5]
	s_barrier
	ds_write_b32 v12, v7
	s_waitcnt lgkmcnt(0)
	s_barrier
	s_and_saveexec_b64 s[0:1], s[2:3]
	s_cbranch_execz .LBB63_61
; %bb.58:
	ds_read_b32 v1, v14
	s_waitcnt lgkmcnt(0)
	v_cmp_eq_u32_e32 vcc, v5, v1
	s_and_saveexec_b64 s[2:3], vcc
	s_cbranch_execz .LBB63_60
; %bb.59:
	v_add_u32_e32 v1, -8, v12
	ds_read_b32 v1, v1
	s_waitcnt lgkmcnt(0)
	v_add_f32_e32 v7, v7, v1
.LBB63_60:
	s_or_b64 exec, exec, s[2:3]
.LBB63_61:
	s_or_b64 exec, exec, s[0:1]
	s_barrier
	;; [unrolled: 21-line block ×3, first 2 shown]
	ds_write_b32 v12, v7
	s_waitcnt lgkmcnt(0)
	s_barrier
	s_and_saveexec_b64 s[0:1], s[6:7]
	s_cbranch_execz .LBB63_69
; %bb.66:
	ds_read_b32 v1, v16
	s_waitcnt lgkmcnt(0)
	v_cmp_eq_u32_e32 vcc, v5, v1
	s_and_saveexec_b64 s[2:3], vcc
	s_cbranch_execz .LBB63_68
; %bb.67:
	v_subrev_u32_e32 v1, 32, v12
	ds_read_b32 v1, v1
	s_waitcnt lgkmcnt(0)
	v_add_f32_e32 v7, v7, v1
.LBB63_68:
	s_or_b64 exec, exec, s[2:3]
.LBB63_69:
	s_or_b64 exec, exec, s[0:1]
	s_barrier
	ds_write_b32 v12, v7
	s_waitcnt lgkmcnt(0)
	s_barrier
	s_and_saveexec_b64 s[0:1], s[8:9]
	s_cbranch_execz .LBB63_73
; %bb.70:
	ds_read_b32 v1, v17
	s_waitcnt lgkmcnt(0)
	v_cmp_eq_u32_e32 vcc, v5, v1
	s_and_saveexec_b64 s[2:3], vcc
	s_cbranch_execz .LBB63_72
; %bb.71:
	v_subrev_u32_e32 v1, 64, v12
	ds_read_b32 v1, v1
	s_waitcnt lgkmcnt(0)
	v_add_f32_e32 v7, v7, v1
.LBB63_72:
	s_or_b64 exec, exec, s[2:3]
.LBB63_73:
	s_or_b64 exec, exec, s[0:1]
	s_barrier
	ds_write_b32 v12, v7
	s_waitcnt lgkmcnt(0)
	s_barrier
	s_and_saveexec_b64 s[0:1], s[10:11]
	s_cbranch_execz .LBB63_77
; %bb.74:
	v_add_u32_e32 v1, 0xffffff80, v11
	ds_read_b32 v1, v1
	s_waitcnt lgkmcnt(0)
	v_cmp_eq_u32_e32 vcc, v5, v1
	s_and_saveexec_b64 s[2:3], vcc
	s_cbranch_execz .LBB63_76
; %bb.75:
	v_add_u32_e32 v1, 0xffffff80, v12
	ds_read_b32 v1, v1
	s_waitcnt lgkmcnt(0)
	v_add_f32_e32 v7, v7, v1
.LBB63_76:
	s_or_b64 exec, exec, s[2:3]
.LBB63_77:
	s_or_b64 exec, exec, s[0:1]
	s_barrier
	ds_write_b32 v12, v7
	s_waitcnt lgkmcnt(0)
	s_barrier
	s_and_saveexec_b64 s[0:1], s[12:13]
	s_cbranch_execz .LBB63_81
; %bb.78:
	v_add_u32_e32 v1, 0xffffff00, v11
	ds_read_b32 v1, v1
	s_waitcnt lgkmcnt(0)
	v_cmp_eq_u32_e32 vcc, v5, v1
	s_and_saveexec_b64 s[2:3], vcc
	s_cbranch_execz .LBB63_80
; %bb.79:
	v_add_u32_e32 v1, 0xffffff00, v12
	ds_read_b32 v1, v1
	s_waitcnt lgkmcnt(0)
	v_add_f32_e32 v7, v7, v1
.LBB63_80:
	s_or_b64 exec, exec, s[2:3]
.LBB63_81:
	;; [unrolled: 22-line block ×3, first 2 shown]
	s_or_b64 exec, exec, s[0:1]
	s_barrier
	ds_write_b32 v12, v7
	s_waitcnt lgkmcnt(0)
	s_barrier
	s_and_saveexec_b64 s[2:3], s[16:17]
	s_cbranch_execz .LBB63_89
; %bb.86:
	ds_read_b32 v1, v11 offset:4
	v_cmp_lt_i32_e64 s[0:1], -1, v5
	s_waitcnt lgkmcnt(0)
	v_cmp_ne_u32_e32 vcc, v5, v1
	s_and_b64 s[0:1], s[0:1], vcc
	s_and_b64 exec, exec, s[0:1]
	s_cbranch_execz .LBB63_89
; %bb.87:
	v_mov_b32_e32 v6, 0
	v_lshlrev_b64 v[1:2], 2, v[5:6]
	v_mov_b32_e32 v3, s23
	v_add_co_u32_e32 v1, vcc, s22, v1
	v_addc_co_u32_e32 v2, vcc, v3, v2, vcc
	global_load_dword v4, v[1:2], off
	v_mul_f32_e32 v6, s38, v7
	s_mov_b64 s[0:1], 0
.LBB63_88:                              ; =>This Inner Loop Header: Depth=1
	s_waitcnt vmcnt(0)
	v_add_f32_e32 v3, v4, v6
	global_atomic_cmpswap v3, v[1:2], v[3:4], off glc
	s_waitcnt vmcnt(0)
	v_cmp_eq_u32_e32 vcc, v3, v4
	s_or_b64 s[0:1], vcc, s[0:1]
	v_mov_b32_e32 v4, v3
	s_andn2_b64 exec, exec, s[0:1]
	s_cbranch_execnz .LBB63_88
.LBB63_89:
	s_or_b64 exec, exec, s[2:3]
	s_movk_i32 s0, 0xff
	v_cmp_eq_u32_e32 vcc, s0, v0
	v_cmp_lt_i32_e64 s[0:1], -1, v5
	s_and_b64 s[0:1], vcc, s[0:1]
	s_and_saveexec_b64 s[2:3], s[0:1]
	s_cbranch_execz .LBB63_92
; %bb.90:
	v_mov_b32_e32 v6, 0
	v_lshlrev_b64 v[0:1], 2, v[5:6]
	v_mov_b32_e32 v2, s23
	v_add_co_u32_e32 v0, vcc, s22, v0
	v_addc_co_u32_e32 v1, vcc, v2, v1, vcc
	global_load_dword v3, v[0:1], off
	v_mul_f32_e32 v4, s38, v7
	s_mov_b64 s[0:1], 0
.LBB63_91:                              ; =>This Inner Loop Header: Depth=1
	s_waitcnt vmcnt(0)
	v_add_f32_e32 v2, v3, v4
	global_atomic_cmpswap v2, v[0:1], v[2:3], off glc
	s_waitcnt vmcnt(0)
	v_cmp_eq_u32_e32 vcc, v2, v3
	s_or_b64 s[0:1], vcc, s[0:1]
	v_mov_b32_e32 v3, v2
	s_andn2_b64 exec, exec, s[0:1]
	s_cbranch_execnz .LBB63_91
.LBB63_92:
	s_endpgm
	.section	.rodata,"a",@progbits
	.p2align	6, 0x0
	.amdhsa_kernel _ZN9rocsparseL19coomvn_atomic_loopsILj256ELj2EiDF16_DF16_ffEEvlNS_24const_host_device_scalarIT5_EEPKT1_S6_PKT2_PKT3_PT4_21rocsparse_index_base_b
		.amdhsa_group_segment_fixed_size 2048
		.amdhsa_private_segment_fixed_size 0
		.amdhsa_kernarg_size 64
		.amdhsa_user_sgpr_count 6
		.amdhsa_user_sgpr_private_segment_buffer 1
		.amdhsa_user_sgpr_dispatch_ptr 0
		.amdhsa_user_sgpr_queue_ptr 0
		.amdhsa_user_sgpr_kernarg_segment_ptr 1
		.amdhsa_user_sgpr_dispatch_id 0
		.amdhsa_user_sgpr_flat_scratch_init 0
		.amdhsa_user_sgpr_private_segment_size 0
		.amdhsa_uses_dynamic_stack 0
		.amdhsa_system_sgpr_private_segment_wavefront_offset 0
		.amdhsa_system_sgpr_workgroup_id_x 1
		.amdhsa_system_sgpr_workgroup_id_y 0
		.amdhsa_system_sgpr_workgroup_id_z 0
		.amdhsa_system_sgpr_workgroup_info 0
		.amdhsa_system_vgpr_workitem_id 0
		.amdhsa_next_free_vgpr 18
		.amdhsa_next_free_sgpr 42
		.amdhsa_reserve_vcc 1
		.amdhsa_reserve_flat_scratch 0
		.amdhsa_float_round_mode_32 0
		.amdhsa_float_round_mode_16_64 0
		.amdhsa_float_denorm_mode_32 3
		.amdhsa_float_denorm_mode_16_64 3
		.amdhsa_dx10_clamp 1
		.amdhsa_ieee_mode 1
		.amdhsa_fp16_overflow 0
		.amdhsa_exception_fp_ieee_invalid_op 0
		.amdhsa_exception_fp_denorm_src 0
		.amdhsa_exception_fp_ieee_div_zero 0
		.amdhsa_exception_fp_ieee_overflow 0
		.amdhsa_exception_fp_ieee_underflow 0
		.amdhsa_exception_fp_ieee_inexact 0
		.amdhsa_exception_int_div_zero 0
	.end_amdhsa_kernel
	.section	.text._ZN9rocsparseL19coomvn_atomic_loopsILj256ELj2EiDF16_DF16_ffEEvlNS_24const_host_device_scalarIT5_EEPKT1_S6_PKT2_PKT3_PT4_21rocsparse_index_base_b,"axG",@progbits,_ZN9rocsparseL19coomvn_atomic_loopsILj256ELj2EiDF16_DF16_ffEEvlNS_24const_host_device_scalarIT5_EEPKT1_S6_PKT2_PKT3_PT4_21rocsparse_index_base_b,comdat
.Lfunc_end63:
	.size	_ZN9rocsparseL19coomvn_atomic_loopsILj256ELj2EiDF16_DF16_ffEEvlNS_24const_host_device_scalarIT5_EEPKT1_S6_PKT2_PKT3_PT4_21rocsparse_index_base_b, .Lfunc_end63-_ZN9rocsparseL19coomvn_atomic_loopsILj256ELj2EiDF16_DF16_ffEEvlNS_24const_host_device_scalarIT5_EEPKT1_S6_PKT2_PKT3_PT4_21rocsparse_index_base_b
                                        ; -- End function
	.set _ZN9rocsparseL19coomvn_atomic_loopsILj256ELj2EiDF16_DF16_ffEEvlNS_24const_host_device_scalarIT5_EEPKT1_S6_PKT2_PKT3_PT4_21rocsparse_index_base_b.num_vgpr, 18
	.set _ZN9rocsparseL19coomvn_atomic_loopsILj256ELj2EiDF16_DF16_ffEEvlNS_24const_host_device_scalarIT5_EEPKT1_S6_PKT2_PKT3_PT4_21rocsparse_index_base_b.num_agpr, 0
	.set _ZN9rocsparseL19coomvn_atomic_loopsILj256ELj2EiDF16_DF16_ffEEvlNS_24const_host_device_scalarIT5_EEPKT1_S6_PKT2_PKT3_PT4_21rocsparse_index_base_b.numbered_sgpr, 42
	.set _ZN9rocsparseL19coomvn_atomic_loopsILj256ELj2EiDF16_DF16_ffEEvlNS_24const_host_device_scalarIT5_EEPKT1_S6_PKT2_PKT3_PT4_21rocsparse_index_base_b.num_named_barrier, 0
	.set _ZN9rocsparseL19coomvn_atomic_loopsILj256ELj2EiDF16_DF16_ffEEvlNS_24const_host_device_scalarIT5_EEPKT1_S6_PKT2_PKT3_PT4_21rocsparse_index_base_b.private_seg_size, 0
	.set _ZN9rocsparseL19coomvn_atomic_loopsILj256ELj2EiDF16_DF16_ffEEvlNS_24const_host_device_scalarIT5_EEPKT1_S6_PKT2_PKT3_PT4_21rocsparse_index_base_b.uses_vcc, 1
	.set _ZN9rocsparseL19coomvn_atomic_loopsILj256ELj2EiDF16_DF16_ffEEvlNS_24const_host_device_scalarIT5_EEPKT1_S6_PKT2_PKT3_PT4_21rocsparse_index_base_b.uses_flat_scratch, 0
	.set _ZN9rocsparseL19coomvn_atomic_loopsILj256ELj2EiDF16_DF16_ffEEvlNS_24const_host_device_scalarIT5_EEPKT1_S6_PKT2_PKT3_PT4_21rocsparse_index_base_b.has_dyn_sized_stack, 0
	.set _ZN9rocsparseL19coomvn_atomic_loopsILj256ELj2EiDF16_DF16_ffEEvlNS_24const_host_device_scalarIT5_EEPKT1_S6_PKT2_PKT3_PT4_21rocsparse_index_base_b.has_recursion, 0
	.set _ZN9rocsparseL19coomvn_atomic_loopsILj256ELj2EiDF16_DF16_ffEEvlNS_24const_host_device_scalarIT5_EEPKT1_S6_PKT2_PKT3_PT4_21rocsparse_index_base_b.has_indirect_call, 0
	.section	.AMDGPU.csdata,"",@progbits
; Kernel info:
; codeLenInByte = 2540
; TotalNumSgprs: 46
; NumVgprs: 18
; ScratchSize: 0
; MemoryBound: 0
; FloatMode: 240
; IeeeMode: 1
; LDSByteSize: 2048 bytes/workgroup (compile time only)
; SGPRBlocks: 5
; VGPRBlocks: 4
; NumSGPRsForWavesPerEU: 46
; NumVGPRsForWavesPerEU: 18
; Occupancy: 10
; WaveLimiterHint : 1
; COMPUTE_PGM_RSRC2:SCRATCH_EN: 0
; COMPUTE_PGM_RSRC2:USER_SGPR: 6
; COMPUTE_PGM_RSRC2:TRAP_HANDLER: 0
; COMPUTE_PGM_RSRC2:TGID_X_EN: 1
; COMPUTE_PGM_RSRC2:TGID_Y_EN: 0
; COMPUTE_PGM_RSRC2:TGID_Z_EN: 0
; COMPUTE_PGM_RSRC2:TIDIG_COMP_CNT: 0
	.section	.text._ZN9rocsparseL22coomvn_segmented_loopsILj256ElDF16_DF16_ffEEvlT0_NS_24const_host_device_scalarIT4_EEPKS1_S6_PKT1_PKT2_PT3_PS1_PS3_21rocsparse_index_base_b,"axG",@progbits,_ZN9rocsparseL22coomvn_segmented_loopsILj256ElDF16_DF16_ffEEvlT0_NS_24const_host_device_scalarIT4_EEPKS1_S6_PKT1_PKT2_PT3_PS1_PS3_21rocsparse_index_base_b,comdat
	.globl	_ZN9rocsparseL22coomvn_segmented_loopsILj256ElDF16_DF16_ffEEvlT0_NS_24const_host_device_scalarIT4_EEPKS1_S6_PKT1_PKT2_PT3_PS1_PS3_21rocsparse_index_base_b ; -- Begin function _ZN9rocsparseL22coomvn_segmented_loopsILj256ElDF16_DF16_ffEEvlT0_NS_24const_host_device_scalarIT4_EEPKS1_S6_PKT1_PKT2_PT3_PS1_PS3_21rocsparse_index_base_b
	.p2align	8
	.type	_ZN9rocsparseL22coomvn_segmented_loopsILj256ElDF16_DF16_ffEEvlT0_NS_24const_host_device_scalarIT4_EEPKS1_S6_PKT1_PKT2_PT3_PS1_PS3_21rocsparse_index_base_b,@function
_ZN9rocsparseL22coomvn_segmented_loopsILj256ElDF16_DF16_ffEEvlT0_NS_24const_host_device_scalarIT4_EEPKS1_S6_PKT1_PKT2_PT3_PS1_PS3_21rocsparse_index_base_b: ; @_ZN9rocsparseL22coomvn_segmented_loopsILj256ElDF16_DF16_ffEEvlT0_NS_24const_host_device_scalarIT4_EEPKS1_S6_PKT1_PKT2_PT3_PS1_PS3_21rocsparse_index_base_b
; %bb.0:
	s_load_dwordx2 s[44:45], s[4:5], 0x50
	s_load_dwordx2 s[34:35], s[4:5], 0x10
	s_waitcnt lgkmcnt(0)
	s_bitcmp1_b32 s45, 0
	s_cselect_b64 s[0:1], -1, 0
	s_and_b64 vcc, exec, s[0:1]
	s_cbranch_vccnz .LBB64_2
; %bb.1:
	s_load_dword s34, s[34:35], 0x0
.LBB64_2:
	s_waitcnt lgkmcnt(0)
	v_cmp_eq_f32_e64 s[0:1], s34, 0
	s_mov_b32 s7, 0
	s_and_b64 vcc, exec, s[0:1]
	s_cbranch_vccnz .LBB64_89
; %bb.3:
	s_load_dwordx4 s[28:31], s[4:5], 0x0
	s_load_dwordx8 s[36:43], s[4:5], 0x18
	v_mov_b32_e32 v1, -1
	v_mov_b32_e32 v2, -1
	v_mov_b32_e32 v18, 0
	s_waitcnt lgkmcnt(0)
	s_mul_i32 s1, s6, s31
	s_mul_hi_u32 s2, s6, s30
	s_mul_i32 s0, s6, s30
	s_add_i32 s1, s2, s1
	s_lshl_b64 s[0:1], s[0:1], 8
	v_or_b32_e32 v5, s0, v0
	v_mov_b32_e32 v6, s1
	v_cmp_gt_i64_e32 vcc, s[28:29], v[5:6]
	s_and_saveexec_b64 s[0:1], vcc
	s_cbranch_execz .LBB64_5
; %bb.4:
	v_lshlrev_b64 v[1:2], 3, v[5:6]
	v_mov_b32_e32 v4, s39
	v_add_co_u32_e32 v3, vcc, s38, v1
	v_addc_co_u32_e32 v4, vcc, v4, v2, vcc
	global_load_dwordx2 v[3:4], v[3:4], off glc slc
	v_lshlrev_b64 v[7:8], 1, v[5:6]
	v_mov_b32_e32 v10, s41
	v_add_co_u32_e32 v7, vcc, s40, v7
	v_addc_co_u32_e32 v8, vcc, v10, v8, vcc
	v_mov_b32_e32 v11, s43
	s_ashr_i32 s45, s44, 31
	s_lshl_b64 s[2:3], s[44:45], 1
	v_mov_b32_e32 v10, s3
	global_load_ushort v7, v[7:8], off
	v_mov_b32_e32 v9, s37
	s_waitcnt vmcnt(1)
	v_lshlrev_b64 v[3:4], 1, v[3:4]
	v_add_co_u32_e32 v3, vcc, s42, v3
	v_addc_co_u32_e32 v4, vcc, v11, v4, vcc
	v_subrev_co_u32_e32 v3, vcc, s2, v3
	v_subb_co_u32_e32 v4, vcc, v4, v10, vcc
	global_load_ushort v3, v[3:4], off
	v_add_co_u32_e32 v1, vcc, s36, v1
	v_addc_co_u32_e32 v2, vcc, v9, v2, vcc
	global_load_dwordx2 v[1:2], v[1:2], off glc slc
	s_waitcnt vmcnt(2)
	v_cvt_f32_f16_e32 v4, v7
	s_waitcnt vmcnt(1)
	v_cvt_f32_f16_e32 v3, v3
	v_mul_f32_e32 v18, v4, v3
	s_waitcnt vmcnt(0)
	v_subrev_co_u32_e32 v1, vcc, s44, v1
	v_subbrev_co_u32_e32 v2, vcc, 0, v2, vcc
.LBB64_5:
	s_or_b64 exec, exec, s[0:1]
	v_lshlrev_b32_e32 v13, 3, v0
	v_lshlrev_b32_e32 v3, 2, v0
	v_or_b32_e32 v14, 0x800, v3
	v_cmp_eq_u32_e64 s[0:1], 0, v0
	v_cmp_ne_u32_e64 s[2:3], 0, v0
	v_add_u32_e32 v15, -8, v13
	ds_write_b64 v13, v[1:2]
	ds_write_b32 v3, v18 offset:2048
	s_waitcnt lgkmcnt(0)
	s_barrier
	s_and_saveexec_b64 s[8:9], s[2:3]
	s_cbranch_execz .LBB64_9
; %bb.6:
	ds_read_b64 v[3:4], v15
	s_waitcnt lgkmcnt(0)
	v_cmp_eq_u64_e32 vcc, v[1:2], v[3:4]
	s_and_saveexec_b64 s[10:11], vcc
	s_cbranch_execz .LBB64_8
; %bb.7:
	v_add_u32_e32 v3, -4, v14
	ds_read_b32 v3, v3
	s_waitcnt lgkmcnt(0)
	v_add_f32_e32 v18, v18, v3
.LBB64_8:
	s_or_b64 exec, exec, s[10:11]
.LBB64_9:
	s_or_b64 exec, exec, s[8:9]
	v_cmp_lt_u32_e64 s[22:23], 1, v0
	v_add_u32_e32 v16, -16, v13
	s_barrier
	ds_write_b32 v14, v18
	s_waitcnt lgkmcnt(0)
	s_barrier
	s_and_saveexec_b64 s[8:9], s[22:23]
	s_cbranch_execz .LBB64_13
; %bb.10:
	ds_read_b64 v[3:4], v16
	s_waitcnt lgkmcnt(0)
	v_cmp_eq_u64_e32 vcc, v[1:2], v[3:4]
	s_and_saveexec_b64 s[10:11], vcc
	s_cbranch_execz .LBB64_12
; %bb.11:
	v_add_u32_e32 v3, -8, v14
	ds_read_b32 v3, v3
	s_waitcnt lgkmcnt(0)
	v_add_f32_e32 v18, v18, v3
.LBB64_12:
	s_or_b64 exec, exec, s[10:11]
.LBB64_13:
	s_or_b64 exec, exec, s[8:9]
	v_cmp_lt_u32_e64 s[8:9], 3, v0
	v_subrev_u32_e32 v17, 32, v13
	s_barrier
	ds_write_b32 v14, v18
	s_waitcnt lgkmcnt(0)
	s_barrier
	s_and_saveexec_b64 s[10:11], s[8:9]
	s_cbranch_execz .LBB64_17
; %bb.14:
	ds_read_b64 v[3:4], v17
	s_waitcnt lgkmcnt(0)
	v_cmp_eq_u64_e32 vcc, v[1:2], v[3:4]
	s_and_saveexec_b64 s[12:13], vcc
	s_cbranch_execz .LBB64_16
; %bb.15:
	v_add_u32_e32 v3, -16, v14
	ds_read_b32 v3, v3
	s_waitcnt lgkmcnt(0)
	v_add_f32_e32 v18, v18, v3
.LBB64_16:
	s_or_b64 exec, exec, s[12:13]
.LBB64_17:
	s_or_b64 exec, exec, s[10:11]
	v_cmp_lt_u32_e64 s[10:11], 7, v0
	v_subrev_u32_e32 v19, 64, v13
	s_barrier
	ds_write_b32 v14, v18
	s_waitcnt lgkmcnt(0)
	s_barrier
	s_and_saveexec_b64 s[12:13], s[10:11]
	s_cbranch_execz .LBB64_21
; %bb.18:
	ds_read_b64 v[3:4], v19
	s_waitcnt lgkmcnt(0)
	v_cmp_eq_u64_e32 vcc, v[1:2], v[3:4]
	s_and_saveexec_b64 s[14:15], vcc
	s_cbranch_execz .LBB64_20
; %bb.19:
	v_subrev_u32_e32 v3, 32, v14
	ds_read_b32 v3, v3
	s_waitcnt lgkmcnt(0)
	v_add_f32_e32 v18, v18, v3
.LBB64_20:
	s_or_b64 exec, exec, s[14:15]
.LBB64_21:
	s_or_b64 exec, exec, s[12:13]
	v_cmp_lt_u32_e64 s[12:13], 15, v0
	s_barrier
	ds_write_b32 v14, v18
	s_waitcnt lgkmcnt(0)
	s_barrier
	s_and_saveexec_b64 s[14:15], s[12:13]
	s_cbranch_execz .LBB64_25
; %bb.22:
	v_add_u32_e32 v3, 0xffffff80, v13
	ds_read_b64 v[3:4], v3
	s_waitcnt lgkmcnt(0)
	v_cmp_eq_u64_e32 vcc, v[1:2], v[3:4]
	s_and_saveexec_b64 s[16:17], vcc
	s_cbranch_execz .LBB64_24
; %bb.23:
	v_subrev_u32_e32 v3, 64, v14
	ds_read_b32 v3, v3
	s_waitcnt lgkmcnt(0)
	v_add_f32_e32 v18, v18, v3
.LBB64_24:
	s_or_b64 exec, exec, s[16:17]
.LBB64_25:
	s_or_b64 exec, exec, s[14:15]
	v_cmp_lt_u32_e64 s[14:15], 31, v0
	s_barrier
	ds_write_b32 v14, v18
	s_waitcnt lgkmcnt(0)
	s_barrier
	s_and_saveexec_b64 s[16:17], s[14:15]
	s_cbranch_execz .LBB64_29
; %bb.26:
	v_add_u32_e32 v3, 0xffffff00, v13
	ds_read_b64 v[3:4], v3
	s_waitcnt lgkmcnt(0)
	v_cmp_eq_u64_e32 vcc, v[1:2], v[3:4]
	s_and_saveexec_b64 s[18:19], vcc
	s_cbranch_execz .LBB64_28
; %bb.27:
	v_add_u32_e32 v3, 0xffffff80, v14
	ds_read_b32 v3, v3
	s_waitcnt lgkmcnt(0)
	v_add_f32_e32 v18, v18, v3
.LBB64_28:
	s_or_b64 exec, exec, s[18:19]
.LBB64_29:
	s_or_b64 exec, exec, s[16:17]
	v_cmp_lt_u32_e64 s[16:17], 63, v0
	s_barrier
	ds_write_b32 v14, v18
	s_waitcnt lgkmcnt(0)
	s_barrier
	s_and_saveexec_b64 s[18:19], s[16:17]
	s_cbranch_execz .LBB64_33
; %bb.30:
	v_add_u32_e32 v3, 0xfffffe00, v13
	ds_read_b64 v[3:4], v3
	s_waitcnt lgkmcnt(0)
	v_cmp_eq_u64_e32 vcc, v[1:2], v[3:4]
	s_and_saveexec_b64 s[20:21], vcc
	s_cbranch_execz .LBB64_32
; %bb.31:
	v_add_u32_e32 v3, 0xffffff00, v14
	ds_read_b32 v3, v3
	s_waitcnt lgkmcnt(0)
	v_add_f32_e32 v18, v18, v3
.LBB64_32:
	s_or_b64 exec, exec, s[20:21]
.LBB64_33:
	s_or_b64 exec, exec, s[18:19]
	s_load_dwordx2 s[46:47], s[4:5], 0x38
	s_movk_i32 s18, 0x7f
	v_cmp_lt_u32_e64 s[18:19], s18, v0
	s_waitcnt lgkmcnt(0)
	s_barrier
	ds_write_b32 v14, v18
	s_waitcnt lgkmcnt(0)
	s_barrier
	s_and_saveexec_b64 s[20:21], s[18:19]
	s_cbranch_execz .LBB64_37
; %bb.34:
	v_add_u32_e32 v3, 0xfffffc00, v13
	ds_read_b64 v[3:4], v3
	s_waitcnt lgkmcnt(0)
	v_cmp_eq_u64_e32 vcc, v[1:2], v[3:4]
	s_and_saveexec_b64 s[24:25], vcc
	s_cbranch_execz .LBB64_36
; %bb.35:
	v_add_u32_e32 v3, 0xfffffe00, v14
	ds_read_b32 v3, v3
	s_waitcnt lgkmcnt(0)
	v_add_f32_e32 v18, v18, v3
.LBB64_36:
	s_or_b64 exec, exec, s[24:25]
.LBB64_37:
	s_or_b64 exec, exec, s[20:21]
	s_movk_i32 s20, 0xff
	v_cmp_gt_u32_e64 s[20:21], s20, v0
	s_barrier
	ds_write_b32 v14, v18
	s_waitcnt lgkmcnt(0)
	s_barrier
	s_and_saveexec_b64 s[26:27], s[20:21]
	s_cbranch_execz .LBB64_40
; %bb.38:
	ds_read_b64 v[3:4], v13 offset:8
	v_cmp_lt_i64_e64 s[24:25], -1, v[1:2]
	s_waitcnt lgkmcnt(0)
	v_cmp_ne_u64_e32 vcc, v[1:2], v[3:4]
	s_and_b64 s[24:25], s[24:25], vcc
	s_and_b64 exec, exec, s[24:25]
	s_cbranch_execz .LBB64_40
; %bb.39:
	v_lshlrev_b64 v[3:4], 2, v[1:2]
	v_mov_b32_e32 v7, s47
	v_add_co_u32_e32 v3, vcc, s46, v3
	v_addc_co_u32_e32 v4, vcc, v7, v4, vcc
	global_load_dword v7, v[3:4], off
	s_waitcnt vmcnt(0)
	v_fmac_f32_e32 v7, s34, v18
	global_store_dword v[3:4], v7, off
.LBB64_40:
	s_or_b64 exec, exec, s[26:27]
	s_load_dwordx4 s[24:27], s[4:5], 0x40
	v_cmp_lt_i64_e64 s[4:5], s[30:31], 2
	s_and_b64 vcc, exec, s[4:5]
	s_cbranch_vccnz .LBB64_87
; %bb.41:
	s_add_u32 s48, s30, -1
	s_addc_u32 s49, s31, -1
	s_ashr_i32 s45, s44, 31
	s_lshl_b64 s[4:5], s[44:45], 1
	s_sub_u32 s33, s42, s4
	s_subb_u32 s35, s43, s5
	s_mul_i32 s4, s31, s6
	s_mul_hi_u32 s5, s30, s6
	s_add_i32 s5, s5, s4
	s_mul_i32 s4, s30, s6
	s_lshl_b64 s[30:31], s[4:5], 11
	v_lshl_or_b32 v1, v0, 3, s30
	s_movk_i32 s30, 0x800
	v_mov_b32_e32 v2, s31
	v_add_co_u32_e32 v1, vcc, s30, v1
	v_addc_co_u32_e32 v2, vcc, 0, v2, vcc
	v_mov_b32_e32 v4, s39
	v_add_co_u32_e32 v3, vcc, s38, v1
	v_addc_co_u32_e32 v4, vcc, v4, v2, vcc
	v_mov_b32_e32 v8, s37
	v_add_co_u32_e32 v7, vcc, s36, v1
	s_lshl_b64 s[4:5], s[4:5], 9
	v_addc_co_u32_e32 v8, vcc, v8, v2, vcc
	s_movk_i32 s30, 0x100
	s_add_u32 s4, s40, s4
	v_add_co_u32_e32 v5, vcc, s30, v5
	v_lshlrev_b32_e32 v9, 1, v0
	s_addc_u32 s5, s41, s5
	v_addc_co_u32_e32 v6, vcc, 0, v6, vcc
	v_mov_b32_e32 v1, s5
	v_add_co_u32_e32 v2, vcc, s4, v9
	v_addc_co_u32_e32 v1, vcc, 0, v1, vcc
	s_movk_i32 s4, 0x200
	v_add_co_u32_e32 v9, vcc, s4, v2
	v_subrev_u32_e32 v20, 32, v14
	v_add_u32_e32 v21, 0xffffff80, v13
	v_subrev_u32_e32 v22, 64, v14
	v_add_u32_e32 v23, 0xffffff00, v13
	v_add_u32_e32 v24, 0xffffff80, v14
	v_addc_co_u32_e32 v10, vcc, 0, v1, vcc
	v_add_u32_e32 v25, 0xfffffe00, v13
	s_mov_b64 s[30:31], 0
	v_add_u32_e32 v26, 0xffffff00, v14
	v_add_u32_e32 v27, 0xfffffc00, v13
	;; [unrolled: 1-line block ×3, first 2 shown]
	v_mov_b32_e32 v29, 0
	s_branch .LBB64_43
.LBB64_42:                              ;   in Loop: Header=BB64_43 Depth=1
	s_or_b64 exec, exec, s[36:37]
	v_add_co_u32_e32 v3, vcc, 0x800, v3
	v_addc_co_u32_e32 v4, vcc, 0, v4, vcc
	v_add_co_u32_e32 v9, vcc, 0x200, v9
	v_addc_co_u32_e32 v10, vcc, 0, v10, vcc
	s_add_u32 s30, s30, 1
	v_add_co_u32_e32 v7, vcc, 0x800, v7
	s_addc_u32 s31, s31, 0
	v_mov_b32_e32 v11, s30
	v_addc_co_u32_e32 v8, vcc, 0, v8, vcc
	v_mov_b32_e32 v12, s31
	v_add_co_u32_e32 v5, vcc, 0x100, v5
	v_cmp_le_u64_e64 s[4:5], s[48:49], v[11:12]
	v_addc_co_u32_e32 v6, vcc, 0, v6, vcc
	s_and_b64 vcc, exec, s[4:5]
	s_cbranch_vccnz .LBB64_87
.LBB64_43:                              ; =>This Inner Loop Header: Depth=1
	v_cmp_gt_i64_e32 vcc, s[28:29], v[5:6]
	v_mov_b32_e32 v1, -1
	v_mov_b32_e32 v2, -1
	v_mov_b32_e32 v18, 0
	s_and_saveexec_b64 s[4:5], vcc
	s_cbranch_execz .LBB64_45
; %bb.44:                               ;   in Loop: Header=BB64_43 Depth=1
	global_load_dwordx2 v[1:2], v[3:4], off glc slc
	global_load_ushort v18, v[9:10], off
	v_mov_b32_e32 v11, s35
	s_waitcnt vmcnt(1)
	v_lshlrev_b64 v[1:2], 1, v[1:2]
	s_waitcnt vmcnt(0)
	v_cvt_f32_f16_e32 v18, v18
	v_add_co_u32_e32 v1, vcc, s33, v1
	v_addc_co_u32_e32 v2, vcc, v11, v2, vcc
	global_load_ushort v30, v[1:2], off
	global_load_dwordx2 v[11:12], v[7:8], off glc slc
	s_waitcnt vmcnt(1)
	v_cvt_f32_f16_e32 v30, v30
	s_waitcnt vmcnt(0)
	v_subrev_co_u32_e32 v1, vcc, s44, v11
	v_subbrev_co_u32_e32 v2, vcc, 0, v12, vcc
	v_mul_f32_e32 v18, v18, v30
.LBB64_45:                              ;   in Loop: Header=BB64_43 Depth=1
	s_or_b64 exec, exec, s[4:5]
	s_and_saveexec_b64 s[4:5], s[0:1]
	s_cbranch_execz .LBB64_52
; %bb.46:                               ;   in Loop: Header=BB64_43 Depth=1
	ds_read_b64 v[11:12], v29 offset:2040
	s_waitcnt lgkmcnt(0)
	v_cmp_ne_u64_e32 vcc, v[1:2], v[11:12]
	s_and_saveexec_b64 s[36:37], vcc
	s_xor_b64 s[36:37], exec, s[36:37]
	s_cbranch_execz .LBB64_49
; %bb.47:                               ;   in Loop: Header=BB64_43 Depth=1
	v_cmp_gt_i64_e32 vcc, 0, v[11:12]
	s_cbranch_vccnz .LBB64_49
; %bb.48:                               ;   in Loop: Header=BB64_43 Depth=1
	v_lshlrev_b64 v[11:12], 2, v[11:12]
	v_mov_b32_e32 v30, s47
	v_add_co_u32_e32 v11, vcc, s46, v11
	v_addc_co_u32_e32 v12, vcc, v30, v12, vcc
	global_load_dword v30, v[11:12], off
	ds_read_b32 v31, v29 offset:3068
	s_waitcnt vmcnt(0) lgkmcnt(0)
	v_fmac_f32_e32 v30, s34, v31
	global_store_dword v[11:12], v30, off
.LBB64_49:                              ;   in Loop: Header=BB64_43 Depth=1
	s_andn2_saveexec_b64 s[36:37], s[36:37]
	s_cbranch_execz .LBB64_51
; %bb.50:                               ;   in Loop: Header=BB64_43 Depth=1
	ds_read_b32 v11, v29 offset:3068
	s_waitcnt lgkmcnt(0)
	v_add_f32_e32 v18, v18, v11
.LBB64_51:                              ;   in Loop: Header=BB64_43 Depth=1
	s_or_b64 exec, exec, s[36:37]
.LBB64_52:                              ;   in Loop: Header=BB64_43 Depth=1
	s_or_b64 exec, exec, s[4:5]
	s_waitcnt vmcnt(0) lgkmcnt(0)
	s_barrier
	ds_write_b64 v13, v[1:2]
	ds_write_b32 v14, v18
	s_waitcnt lgkmcnt(0)
	s_barrier
	s_and_saveexec_b64 s[4:5], s[2:3]
	s_cbranch_execz .LBB64_56
; %bb.53:                               ;   in Loop: Header=BB64_43 Depth=1
	ds_read_b64 v[11:12], v15
	s_waitcnt lgkmcnt(0)
	v_cmp_eq_u64_e32 vcc, v[1:2], v[11:12]
	s_and_saveexec_b64 s[36:37], vcc
	s_cbranch_execz .LBB64_55
; %bb.54:                               ;   in Loop: Header=BB64_43 Depth=1
	v_add_u32_e32 v11, -4, v14
	ds_read_b32 v11, v11
	s_waitcnt lgkmcnt(0)
	v_add_f32_e32 v18, v18, v11
.LBB64_55:                              ;   in Loop: Header=BB64_43 Depth=1
	s_or_b64 exec, exec, s[36:37]
.LBB64_56:                              ;   in Loop: Header=BB64_43 Depth=1
	s_or_b64 exec, exec, s[4:5]
	s_barrier
	ds_write_b32 v14, v18
	s_waitcnt lgkmcnt(0)
	s_barrier
	s_and_saveexec_b64 s[4:5], s[22:23]
	s_cbranch_execz .LBB64_60
; %bb.57:                               ;   in Loop: Header=BB64_43 Depth=1
	ds_read_b64 v[11:12], v16
	s_waitcnt lgkmcnt(0)
	v_cmp_eq_u64_e32 vcc, v[1:2], v[11:12]
	s_and_saveexec_b64 s[36:37], vcc
	s_cbranch_execz .LBB64_59
; %bb.58:                               ;   in Loop: Header=BB64_43 Depth=1
	v_add_u32_e32 v11, -8, v14
	ds_read_b32 v11, v11
	s_waitcnt lgkmcnt(0)
	v_add_f32_e32 v18, v18, v11
.LBB64_59:                              ;   in Loop: Header=BB64_43 Depth=1
	s_or_b64 exec, exec, s[36:37]
.LBB64_60:                              ;   in Loop: Header=BB64_43 Depth=1
	s_or_b64 exec, exec, s[4:5]
	s_barrier
	;; [unrolled: 21-line block ×3, first 2 shown]
	ds_write_b32 v14, v18
	s_waitcnt lgkmcnt(0)
	s_barrier
	s_and_saveexec_b64 s[4:5], s[10:11]
	s_cbranch_execz .LBB64_68
; %bb.65:                               ;   in Loop: Header=BB64_43 Depth=1
	ds_read_b64 v[11:12], v19
	s_waitcnt lgkmcnt(0)
	v_cmp_eq_u64_e32 vcc, v[1:2], v[11:12]
	s_and_saveexec_b64 s[36:37], vcc
	s_cbranch_execz .LBB64_67
; %bb.66:                               ;   in Loop: Header=BB64_43 Depth=1
	ds_read_b32 v11, v20
	s_waitcnt lgkmcnt(0)
	v_add_f32_e32 v18, v18, v11
.LBB64_67:                              ;   in Loop: Header=BB64_43 Depth=1
	s_or_b64 exec, exec, s[36:37]
.LBB64_68:                              ;   in Loop: Header=BB64_43 Depth=1
	s_or_b64 exec, exec, s[4:5]
	s_barrier
	ds_write_b32 v14, v18
	s_waitcnt lgkmcnt(0)
	s_barrier
	s_and_saveexec_b64 s[4:5], s[12:13]
	s_cbranch_execz .LBB64_72
; %bb.69:                               ;   in Loop: Header=BB64_43 Depth=1
	ds_read_b64 v[11:12], v21
	s_waitcnt lgkmcnt(0)
	v_cmp_eq_u64_e32 vcc, v[1:2], v[11:12]
	s_and_saveexec_b64 s[36:37], vcc
	s_cbranch_execz .LBB64_71
; %bb.70:                               ;   in Loop: Header=BB64_43 Depth=1
	ds_read_b32 v11, v22
	s_waitcnt lgkmcnt(0)
	v_add_f32_e32 v18, v18, v11
.LBB64_71:                              ;   in Loop: Header=BB64_43 Depth=1
	s_or_b64 exec, exec, s[36:37]
.LBB64_72:                              ;   in Loop: Header=BB64_43 Depth=1
	s_or_b64 exec, exec, s[4:5]
	s_barrier
	;; [unrolled: 20-line block ×5, first 2 shown]
	ds_write_b32 v14, v18
	s_waitcnt lgkmcnt(0)
	s_barrier
	s_and_saveexec_b64 s[36:37], s[20:21]
	s_cbranch_execz .LBB64_42
; %bb.85:                               ;   in Loop: Header=BB64_43 Depth=1
	ds_read_b64 v[11:12], v13 offset:8
	v_cmp_lt_i64_e64 s[4:5], -1, v[1:2]
	s_waitcnt lgkmcnt(0)
	v_cmp_ne_u64_e32 vcc, v[1:2], v[11:12]
	s_and_b64 s[4:5], s[4:5], vcc
	s_and_b64 exec, exec, s[4:5]
	s_cbranch_execz .LBB64_42
; %bb.86:                               ;   in Loop: Header=BB64_43 Depth=1
	v_lshlrev_b64 v[11:12], 2, v[1:2]
	v_mov_b32_e32 v30, s47
	v_add_co_u32_e32 v11, vcc, s46, v11
	v_addc_co_u32_e32 v12, vcc, v30, v12, vcc
	global_load_dword v30, v[11:12], off
	s_waitcnt vmcnt(0)
	v_fmac_f32_e32 v30, s34, v18
	global_store_dword v[11:12], v30, off
	s_branch .LBB64_42
.LBB64_87:
	s_movk_i32 s0, 0xff
	v_cmp_eq_u32_e32 vcc, s0, v0
	s_and_saveexec_b64 s[0:1], vcc
	s_cbranch_execz .LBB64_89
; %bb.88:
	s_lshl_b64 s[0:1], s[6:7], 3
	s_waitcnt lgkmcnt(0)
	s_add_u32 s0, s24, s0
	s_addc_u32 s1, s25, s1
	s_lshl_b64 s[2:3], s[6:7], 2
	v_mov_b32_e32 v0, 0
	s_add_u32 s2, s26, s2
	v_mul_f32_e32 v3, s34, v18
	s_addc_u32 s3, s27, s3
	global_store_dwordx2 v0, v[1:2], s[0:1] glc slc
	global_store_dword v0, v3, s[2:3] glc slc
.LBB64_89:
	s_endpgm
	.section	.rodata,"a",@progbits
	.p2align	6, 0x0
	.amdhsa_kernel _ZN9rocsparseL22coomvn_segmented_loopsILj256ElDF16_DF16_ffEEvlT0_NS_24const_host_device_scalarIT4_EEPKS1_S6_PKT1_PKT2_PT3_PS1_PS3_21rocsparse_index_base_b
		.amdhsa_group_segment_fixed_size 3072
		.amdhsa_private_segment_fixed_size 0
		.amdhsa_kernarg_size 88
		.amdhsa_user_sgpr_count 6
		.amdhsa_user_sgpr_private_segment_buffer 1
		.amdhsa_user_sgpr_dispatch_ptr 0
		.amdhsa_user_sgpr_queue_ptr 0
		.amdhsa_user_sgpr_kernarg_segment_ptr 1
		.amdhsa_user_sgpr_dispatch_id 0
		.amdhsa_user_sgpr_flat_scratch_init 0
		.amdhsa_user_sgpr_private_segment_size 0
		.amdhsa_uses_dynamic_stack 0
		.amdhsa_system_sgpr_private_segment_wavefront_offset 0
		.amdhsa_system_sgpr_workgroup_id_x 1
		.amdhsa_system_sgpr_workgroup_id_y 0
		.amdhsa_system_sgpr_workgroup_id_z 0
		.amdhsa_system_sgpr_workgroup_info 0
		.amdhsa_system_vgpr_workitem_id 0
		.amdhsa_next_free_vgpr 32
		.amdhsa_next_free_sgpr 50
		.amdhsa_reserve_vcc 1
		.amdhsa_reserve_flat_scratch 0
		.amdhsa_float_round_mode_32 0
		.amdhsa_float_round_mode_16_64 0
		.amdhsa_float_denorm_mode_32 3
		.amdhsa_float_denorm_mode_16_64 3
		.amdhsa_dx10_clamp 1
		.amdhsa_ieee_mode 1
		.amdhsa_fp16_overflow 0
		.amdhsa_exception_fp_ieee_invalid_op 0
		.amdhsa_exception_fp_denorm_src 0
		.amdhsa_exception_fp_ieee_div_zero 0
		.amdhsa_exception_fp_ieee_overflow 0
		.amdhsa_exception_fp_ieee_underflow 0
		.amdhsa_exception_fp_ieee_inexact 0
		.amdhsa_exception_int_div_zero 0
	.end_amdhsa_kernel
	.section	.text._ZN9rocsparseL22coomvn_segmented_loopsILj256ElDF16_DF16_ffEEvlT0_NS_24const_host_device_scalarIT4_EEPKS1_S6_PKT1_PKT2_PT3_PS1_PS3_21rocsparse_index_base_b,"axG",@progbits,_ZN9rocsparseL22coomvn_segmented_loopsILj256ElDF16_DF16_ffEEvlT0_NS_24const_host_device_scalarIT4_EEPKS1_S6_PKT1_PKT2_PT3_PS1_PS3_21rocsparse_index_base_b,comdat
.Lfunc_end64:
	.size	_ZN9rocsparseL22coomvn_segmented_loopsILj256ElDF16_DF16_ffEEvlT0_NS_24const_host_device_scalarIT4_EEPKS1_S6_PKT1_PKT2_PT3_PS1_PS3_21rocsparse_index_base_b, .Lfunc_end64-_ZN9rocsparseL22coomvn_segmented_loopsILj256ElDF16_DF16_ffEEvlT0_NS_24const_host_device_scalarIT4_EEPKS1_S6_PKT1_PKT2_PT3_PS1_PS3_21rocsparse_index_base_b
                                        ; -- End function
	.set _ZN9rocsparseL22coomvn_segmented_loopsILj256ElDF16_DF16_ffEEvlT0_NS_24const_host_device_scalarIT4_EEPKS1_S6_PKT1_PKT2_PT3_PS1_PS3_21rocsparse_index_base_b.num_vgpr, 32
	.set _ZN9rocsparseL22coomvn_segmented_loopsILj256ElDF16_DF16_ffEEvlT0_NS_24const_host_device_scalarIT4_EEPKS1_S6_PKT1_PKT2_PT3_PS1_PS3_21rocsparse_index_base_b.num_agpr, 0
	.set _ZN9rocsparseL22coomvn_segmented_loopsILj256ElDF16_DF16_ffEEvlT0_NS_24const_host_device_scalarIT4_EEPKS1_S6_PKT1_PKT2_PT3_PS1_PS3_21rocsparse_index_base_b.numbered_sgpr, 50
	.set _ZN9rocsparseL22coomvn_segmented_loopsILj256ElDF16_DF16_ffEEvlT0_NS_24const_host_device_scalarIT4_EEPKS1_S6_PKT1_PKT2_PT3_PS1_PS3_21rocsparse_index_base_b.num_named_barrier, 0
	.set _ZN9rocsparseL22coomvn_segmented_loopsILj256ElDF16_DF16_ffEEvlT0_NS_24const_host_device_scalarIT4_EEPKS1_S6_PKT1_PKT2_PT3_PS1_PS3_21rocsparse_index_base_b.private_seg_size, 0
	.set _ZN9rocsparseL22coomvn_segmented_loopsILj256ElDF16_DF16_ffEEvlT0_NS_24const_host_device_scalarIT4_EEPKS1_S6_PKT1_PKT2_PT3_PS1_PS3_21rocsparse_index_base_b.uses_vcc, 1
	.set _ZN9rocsparseL22coomvn_segmented_loopsILj256ElDF16_DF16_ffEEvlT0_NS_24const_host_device_scalarIT4_EEPKS1_S6_PKT1_PKT2_PT3_PS1_PS3_21rocsparse_index_base_b.uses_flat_scratch, 0
	.set _ZN9rocsparseL22coomvn_segmented_loopsILj256ElDF16_DF16_ffEEvlT0_NS_24const_host_device_scalarIT4_EEPKS1_S6_PKT1_PKT2_PT3_PS1_PS3_21rocsparse_index_base_b.has_dyn_sized_stack, 0
	.set _ZN9rocsparseL22coomvn_segmented_loopsILj256ElDF16_DF16_ffEEvlT0_NS_24const_host_device_scalarIT4_EEPKS1_S6_PKT1_PKT2_PT3_PS1_PS3_21rocsparse_index_base_b.has_recursion, 0
	.set _ZN9rocsparseL22coomvn_segmented_loopsILj256ElDF16_DF16_ffEEvlT0_NS_24const_host_device_scalarIT4_EEPKS1_S6_PKT1_PKT2_PT3_PS1_PS3_21rocsparse_index_base_b.has_indirect_call, 0
	.section	.AMDGPU.csdata,"",@progbits
; Kernel info:
; codeLenInByte = 2624
; TotalNumSgprs: 54
; NumVgprs: 32
; ScratchSize: 0
; MemoryBound: 1
; FloatMode: 240
; IeeeMode: 1
; LDSByteSize: 3072 bytes/workgroup (compile time only)
; SGPRBlocks: 6
; VGPRBlocks: 7
; NumSGPRsForWavesPerEU: 54
; NumVGPRsForWavesPerEU: 32
; Occupancy: 8
; WaveLimiterHint : 1
; COMPUTE_PGM_RSRC2:SCRATCH_EN: 0
; COMPUTE_PGM_RSRC2:USER_SGPR: 6
; COMPUTE_PGM_RSRC2:TRAP_HANDLER: 0
; COMPUTE_PGM_RSRC2:TGID_X_EN: 1
; COMPUTE_PGM_RSRC2:TGID_Y_EN: 0
; COMPUTE_PGM_RSRC2:TGID_Z_EN: 0
; COMPUTE_PGM_RSRC2:TIDIG_COMP_CNT: 0
	.section	.text._ZN9rocsparseL13coomvt_kernelILj1024ElDF16_DF16_ffEEv20rocsparse_operation_lNS_24const_host_device_scalarIT4_EEPKT0_S7_PKT1_PKT2_PT3_21rocsparse_index_base_b,"axG",@progbits,_ZN9rocsparseL13coomvt_kernelILj1024ElDF16_DF16_ffEEv20rocsparse_operation_lNS_24const_host_device_scalarIT4_EEPKT0_S7_PKT1_PKT2_PT3_21rocsparse_index_base_b,comdat
	.globl	_ZN9rocsparseL13coomvt_kernelILj1024ElDF16_DF16_ffEEv20rocsparse_operation_lNS_24const_host_device_scalarIT4_EEPKT0_S7_PKT1_PKT2_PT3_21rocsparse_index_base_b ; -- Begin function _ZN9rocsparseL13coomvt_kernelILj1024ElDF16_DF16_ffEEv20rocsparse_operation_lNS_24const_host_device_scalarIT4_EEPKT0_S7_PKT1_PKT2_PT3_21rocsparse_index_base_b
	.p2align	8
	.type	_ZN9rocsparseL13coomvt_kernelILj1024ElDF16_DF16_ffEEv20rocsparse_operation_lNS_24const_host_device_scalarIT4_EEPKT0_S7_PKT1_PKT2_PT3_21rocsparse_index_base_b,@function
_ZN9rocsparseL13coomvt_kernelILj1024ElDF16_DF16_ffEEv20rocsparse_operation_lNS_24const_host_device_scalarIT4_EEPKT0_S7_PKT1_PKT2_PT3_21rocsparse_index_base_b: ; @_ZN9rocsparseL13coomvt_kernelILj1024ElDF16_DF16_ffEEv20rocsparse_operation_lNS_24const_host_device_scalarIT4_EEPKT0_S7_PKT1_PKT2_PT3_21rocsparse_index_base_b
; %bb.0:
	s_load_dwordx2 s[16:17], s[4:5], 0x40
	s_load_dwordx4 s[0:3], s[4:5], 0x8
	s_waitcnt lgkmcnt(0)
	s_bitcmp1_b32 s17, 0
	s_cselect_b64 s[8:9], -1, 0
	s_and_b64 vcc, exec, s[8:9]
	s_cbranch_vccnz .LBB65_2
; %bb.1:
	s_load_dword s2, s[2:3], 0x0
.LBB65_2:
	s_waitcnt lgkmcnt(0)
	v_cmp_eq_f32_e64 s[8:9], s2, 0
	s_and_b64 vcc, exec, s[8:9]
	s_cbranch_vccnz .LBB65_6
; %bb.3:
	s_load_dword s3, s[4:5], 0x54
	v_mov_b32_e32 v1, 0
	s_waitcnt lgkmcnt(0)
	s_and_b32 s3, s3, 0xffff
	s_mul_i32 s6, s6, s3
	v_add_u32_e32 v0, s6, v0
	v_cmp_gt_i64_e32 vcc, s[0:1], v[0:1]
	s_and_saveexec_b64 s[0:1], vcc
	s_cbranch_execz .LBB65_6
; %bb.4:
	s_load_dwordx8 s[8:15], s[4:5], 0x18
	v_lshlrev_b64 v[2:3], 3, v[0:1]
	v_lshlrev_b64 v[0:1], 1, v[0:1]
	s_load_dwordx2 s[0:1], s[4:5], 0x38
	s_waitcnt lgkmcnt(0)
	v_mov_b32_e32 v5, s9
	v_add_co_u32_e32 v4, vcc, s8, v2
	v_addc_co_u32_e32 v5, vcc, v5, v3, vcc
	global_load_dwordx2 v[4:5], v[4:5], off
	v_mov_b32_e32 v6, s11
	v_add_co_u32_e32 v2, vcc, s10, v2
	v_addc_co_u32_e32 v3, vcc, v6, v3, vcc
	global_load_dwordx2 v[2:3], v[2:3], off
	v_mov_b32_e32 v6, s13
	v_add_co_u32_e32 v0, vcc, s12, v0
	v_addc_co_u32_e32 v1, vcc, v6, v1, vcc
	global_load_ushort v6, v[0:1], off
	v_mov_b32_e32 v8, s15
	v_mov_b32_e32 v7, s1
	s_waitcnt vmcnt(2)
	v_subrev_co_u32_e32 v0, vcc, s16, v4
	v_subbrev_co_u32_e32 v1, vcc, 0, v5, vcc
	v_lshlrev_b64 v[0:1], 1, v[0:1]
	s_waitcnt vmcnt(1)
	v_subrev_co_u32_e32 v2, vcc, s16, v2
	v_subbrev_co_u32_e32 v3, vcc, 0, v3, vcc
	v_add_co_u32_e32 v0, vcc, s14, v0
	v_addc_co_u32_e32 v1, vcc, v8, v1, vcc
	global_load_ushort v4, v[0:1], off
	v_lshlrev_b64 v[0:1], 2, v[2:3]
	s_waitcnt vmcnt(1)
	v_cvt_f32_f16_e32 v2, v6
	v_add_co_u32_e32 v0, vcc, s0, v0
	v_addc_co_u32_e32 v1, vcc, v7, v1, vcc
	global_load_dword v3, v[0:1], off
	v_mul_f32_e32 v2, s2, v2
	s_mov_b64 s[0:1], 0
	s_waitcnt vmcnt(1)
	v_cvt_f32_f16_e32 v4, v4
	v_mul_f32_e32 v4, v2, v4
.LBB65_5:                               ; =>This Inner Loop Header: Depth=1
	s_waitcnt vmcnt(0)
	v_add_f32_e32 v2, v3, v4
	global_atomic_cmpswap v2, v[0:1], v[2:3], off glc
	s_waitcnt vmcnt(0)
	v_cmp_eq_u32_e32 vcc, v2, v3
	s_or_b64 s[0:1], vcc, s[0:1]
	v_mov_b32_e32 v3, v2
	s_andn2_b64 exec, exec, s[0:1]
	s_cbranch_execnz .LBB65_5
.LBB65_6:
	s_endpgm
	.section	.rodata,"a",@progbits
	.p2align	6, 0x0
	.amdhsa_kernel _ZN9rocsparseL13coomvt_kernelILj1024ElDF16_DF16_ffEEv20rocsparse_operation_lNS_24const_host_device_scalarIT4_EEPKT0_S7_PKT1_PKT2_PT3_21rocsparse_index_base_b
		.amdhsa_group_segment_fixed_size 0
		.amdhsa_private_segment_fixed_size 0
		.amdhsa_kernarg_size 328
		.amdhsa_user_sgpr_count 6
		.amdhsa_user_sgpr_private_segment_buffer 1
		.amdhsa_user_sgpr_dispatch_ptr 0
		.amdhsa_user_sgpr_queue_ptr 0
		.amdhsa_user_sgpr_kernarg_segment_ptr 1
		.amdhsa_user_sgpr_dispatch_id 0
		.amdhsa_user_sgpr_flat_scratch_init 0
		.amdhsa_user_sgpr_private_segment_size 0
		.amdhsa_uses_dynamic_stack 0
		.amdhsa_system_sgpr_private_segment_wavefront_offset 0
		.amdhsa_system_sgpr_workgroup_id_x 1
		.amdhsa_system_sgpr_workgroup_id_y 0
		.amdhsa_system_sgpr_workgroup_id_z 0
		.amdhsa_system_sgpr_workgroup_info 0
		.amdhsa_system_vgpr_workitem_id 0
		.amdhsa_next_free_vgpr 9
		.amdhsa_next_free_sgpr 18
		.amdhsa_reserve_vcc 1
		.amdhsa_reserve_flat_scratch 0
		.amdhsa_float_round_mode_32 0
		.amdhsa_float_round_mode_16_64 0
		.amdhsa_float_denorm_mode_32 3
		.amdhsa_float_denorm_mode_16_64 3
		.amdhsa_dx10_clamp 1
		.amdhsa_ieee_mode 1
		.amdhsa_fp16_overflow 0
		.amdhsa_exception_fp_ieee_invalid_op 0
		.amdhsa_exception_fp_denorm_src 0
		.amdhsa_exception_fp_ieee_div_zero 0
		.amdhsa_exception_fp_ieee_overflow 0
		.amdhsa_exception_fp_ieee_underflow 0
		.amdhsa_exception_fp_ieee_inexact 0
		.amdhsa_exception_int_div_zero 0
	.end_amdhsa_kernel
	.section	.text._ZN9rocsparseL13coomvt_kernelILj1024ElDF16_DF16_ffEEv20rocsparse_operation_lNS_24const_host_device_scalarIT4_EEPKT0_S7_PKT1_PKT2_PT3_21rocsparse_index_base_b,"axG",@progbits,_ZN9rocsparseL13coomvt_kernelILj1024ElDF16_DF16_ffEEv20rocsparse_operation_lNS_24const_host_device_scalarIT4_EEPKT0_S7_PKT1_PKT2_PT3_21rocsparse_index_base_b,comdat
.Lfunc_end65:
	.size	_ZN9rocsparseL13coomvt_kernelILj1024ElDF16_DF16_ffEEv20rocsparse_operation_lNS_24const_host_device_scalarIT4_EEPKT0_S7_PKT1_PKT2_PT3_21rocsparse_index_base_b, .Lfunc_end65-_ZN9rocsparseL13coomvt_kernelILj1024ElDF16_DF16_ffEEv20rocsparse_operation_lNS_24const_host_device_scalarIT4_EEPKT0_S7_PKT1_PKT2_PT3_21rocsparse_index_base_b
                                        ; -- End function
	.set _ZN9rocsparseL13coomvt_kernelILj1024ElDF16_DF16_ffEEv20rocsparse_operation_lNS_24const_host_device_scalarIT4_EEPKT0_S7_PKT1_PKT2_PT3_21rocsparse_index_base_b.num_vgpr, 9
	.set _ZN9rocsparseL13coomvt_kernelILj1024ElDF16_DF16_ffEEv20rocsparse_operation_lNS_24const_host_device_scalarIT4_EEPKT0_S7_PKT1_PKT2_PT3_21rocsparse_index_base_b.num_agpr, 0
	.set _ZN9rocsparseL13coomvt_kernelILj1024ElDF16_DF16_ffEEv20rocsparse_operation_lNS_24const_host_device_scalarIT4_EEPKT0_S7_PKT1_PKT2_PT3_21rocsparse_index_base_b.numbered_sgpr, 18
	.set _ZN9rocsparseL13coomvt_kernelILj1024ElDF16_DF16_ffEEv20rocsparse_operation_lNS_24const_host_device_scalarIT4_EEPKT0_S7_PKT1_PKT2_PT3_21rocsparse_index_base_b.num_named_barrier, 0
	.set _ZN9rocsparseL13coomvt_kernelILj1024ElDF16_DF16_ffEEv20rocsparse_operation_lNS_24const_host_device_scalarIT4_EEPKT0_S7_PKT1_PKT2_PT3_21rocsparse_index_base_b.private_seg_size, 0
	.set _ZN9rocsparseL13coomvt_kernelILj1024ElDF16_DF16_ffEEv20rocsparse_operation_lNS_24const_host_device_scalarIT4_EEPKT0_S7_PKT1_PKT2_PT3_21rocsparse_index_base_b.uses_vcc, 1
	.set _ZN9rocsparseL13coomvt_kernelILj1024ElDF16_DF16_ffEEv20rocsparse_operation_lNS_24const_host_device_scalarIT4_EEPKT0_S7_PKT1_PKT2_PT3_21rocsparse_index_base_b.uses_flat_scratch, 0
	.set _ZN9rocsparseL13coomvt_kernelILj1024ElDF16_DF16_ffEEv20rocsparse_operation_lNS_24const_host_device_scalarIT4_EEPKT0_S7_PKT1_PKT2_PT3_21rocsparse_index_base_b.has_dyn_sized_stack, 0
	.set _ZN9rocsparseL13coomvt_kernelILj1024ElDF16_DF16_ffEEv20rocsparse_operation_lNS_24const_host_device_scalarIT4_EEPKT0_S7_PKT1_PKT2_PT3_21rocsparse_index_base_b.has_recursion, 0
	.set _ZN9rocsparseL13coomvt_kernelILj1024ElDF16_DF16_ffEEv20rocsparse_operation_lNS_24const_host_device_scalarIT4_EEPKT0_S7_PKT1_PKT2_PT3_21rocsparse_index_base_b.has_indirect_call, 0
	.section	.AMDGPU.csdata,"",@progbits
; Kernel info:
; codeLenInByte = 356
; TotalNumSgprs: 22
; NumVgprs: 9
; ScratchSize: 0
; MemoryBound: 0
; FloatMode: 240
; IeeeMode: 1
; LDSByteSize: 0 bytes/workgroup (compile time only)
; SGPRBlocks: 2
; VGPRBlocks: 2
; NumSGPRsForWavesPerEU: 22
; NumVGPRsForWavesPerEU: 9
; Occupancy: 10
; WaveLimiterHint : 1
; COMPUTE_PGM_RSRC2:SCRATCH_EN: 0
; COMPUTE_PGM_RSRC2:USER_SGPR: 6
; COMPUTE_PGM_RSRC2:TRAP_HANDLER: 0
; COMPUTE_PGM_RSRC2:TGID_X_EN: 1
; COMPUTE_PGM_RSRC2:TGID_Y_EN: 0
; COMPUTE_PGM_RSRC2:TGID_Z_EN: 0
; COMPUTE_PGM_RSRC2:TIDIG_COMP_CNT: 0
	.section	.text._ZN9rocsparseL19coomvn_atomic_loopsILj256ELj1ElDF16_DF16_ffEEvlNS_24const_host_device_scalarIT5_EEPKT1_S6_PKT2_PKT3_PT4_21rocsparse_index_base_b,"axG",@progbits,_ZN9rocsparseL19coomvn_atomic_loopsILj256ELj1ElDF16_DF16_ffEEvlNS_24const_host_device_scalarIT5_EEPKT1_S6_PKT2_PKT3_PT4_21rocsparse_index_base_b,comdat
	.globl	_ZN9rocsparseL19coomvn_atomic_loopsILj256ELj1ElDF16_DF16_ffEEvlNS_24const_host_device_scalarIT5_EEPKT1_S6_PKT2_PKT3_PT4_21rocsparse_index_base_b ; -- Begin function _ZN9rocsparseL19coomvn_atomic_loopsILj256ELj1ElDF16_DF16_ffEEvlNS_24const_host_device_scalarIT5_EEPKT1_S6_PKT2_PKT3_PT4_21rocsparse_index_base_b
	.p2align	8
	.type	_ZN9rocsparseL19coomvn_atomic_loopsILj256ELj1ElDF16_DF16_ffEEvlNS_24const_host_device_scalarIT5_EEPKT1_S6_PKT2_PKT3_PT4_21rocsparse_index_base_b,@function
_ZN9rocsparseL19coomvn_atomic_loopsILj256ELj1ElDF16_DF16_ffEEvlNS_24const_host_device_scalarIT5_EEPKT1_S6_PKT2_PKT3_PT4_21rocsparse_index_base_b: ; @_ZN9rocsparseL19coomvn_atomic_loopsILj256ELj1ElDF16_DF16_ffEEvlNS_24const_host_device_scalarIT5_EEPKT1_S6_PKT2_PKT3_PT4_21rocsparse_index_base_b
; %bb.0:
	s_load_dwordx2 s[16:17], s[4:5], 0x38
	s_load_dwordx4 s[0:3], s[4:5], 0x0
	s_waitcnt lgkmcnt(0)
	s_bitcmp1_b32 s17, 0
	s_cselect_b64 s[8:9], -1, 0
	s_and_b64 vcc, exec, s[8:9]
	s_cbranch_vccnz .LBB66_2
; %bb.1:
	s_load_dword s2, s[2:3], 0x0
.LBB66_2:
	s_waitcnt lgkmcnt(0)
	v_cmp_eq_f32_e64 s[8:9], s2, 0
	s_and_b64 vcc, exec, s[8:9]
	s_cbranch_vccnz .LBB66_44
; %bb.3:
	v_lshl_or_b32 v1, s6, 8, v0
	v_mov_b32_e32 v2, 0
	v_cmp_gt_i64_e32 vcc, s[0:1], v[1:2]
	v_mov_b32_e32 v3, -1
	v_mov_b32_e32 v4, -1
	s_and_saveexec_b64 s[0:1], vcc
	s_cbranch_execz .LBB66_5
; %bb.4:
	s_load_dwordx8 s[8:15], s[4:5], 0x10
	v_lshlrev_b64 v[3:4], 3, v[1:2]
	v_lshlrev_b64 v[1:2], 1, v[1:2]
	s_waitcnt lgkmcnt(0)
	v_mov_b32_e32 v6, s11
	v_add_co_u32_e32 v5, vcc, s10, v3
	v_addc_co_u32_e32 v6, vcc, v6, v4, vcc
	global_load_dwordx2 v[5:6], v[5:6], off glc slc
	v_mov_b32_e32 v8, s13
	v_add_co_u32_e32 v1, vcc, s12, v1
	v_addc_co_u32_e32 v2, vcc, v8, v2, vcc
	global_load_ushort v8, v[1:2], off
	v_mov_b32_e32 v9, s15
	v_mov_b32_e32 v7, s9
	s_waitcnt vmcnt(1)
	v_subrev_co_u32_e32 v1, vcc, s16, v5
	v_subbrev_co_u32_e32 v2, vcc, 0, v6, vcc
	v_lshlrev_b64 v[1:2], 1, v[1:2]
	v_add_co_u32_e32 v1, vcc, s14, v1
	v_addc_co_u32_e32 v2, vcc, v9, v2, vcc
	global_load_ushort v5, v[1:2], off
	v_add_co_u32_e32 v1, vcc, s8, v3
	v_addc_co_u32_e32 v2, vcc, v7, v4, vcc
	global_load_dwordx2 v[1:2], v[1:2], off glc slc
	s_waitcnt vmcnt(2)
	v_cvt_f32_f16_e32 v6, v8
	s_waitcnt vmcnt(1)
	v_cvt_f32_f16_e32 v5, v5
	s_waitcnt vmcnt(0)
	v_subrev_co_u32_e32 v3, vcc, s16, v1
	v_subbrev_co_u32_e32 v4, vcc, 0, v2, vcc
	v_mul_f32_e32 v2, v6, v5
.LBB66_5:
	s_or_b64 exec, exec, s[0:1]
	v_lshlrev_b32_e32 v6, 2, v0
	v_lshlrev_b32_e32 v1, 3, v0
	v_or_b32_e32 v5, 0x800, v6
	v_cmp_ne_u32_e32 vcc, 0, v0
	ds_write_b64 v1, v[3:4]
	ds_write_b32 v6, v2 offset:2048
	s_waitcnt lgkmcnt(0)
	s_barrier
	s_and_saveexec_b64 s[0:1], vcc
	s_cbranch_execz .LBB66_9
; %bb.6:
	v_add_u32_e32 v6, -8, v1
	ds_read_b64 v[6:7], v6
	s_waitcnt lgkmcnt(0)
	v_cmp_eq_u64_e32 vcc, v[3:4], v[6:7]
	s_and_saveexec_b64 s[6:7], vcc
	s_cbranch_execz .LBB66_8
; %bb.7:
	v_add_u32_e32 v6, -4, v5
	ds_read_b32 v6, v6
	s_waitcnt lgkmcnt(0)
	v_add_f32_e32 v2, v2, v6
.LBB66_8:
	s_or_b64 exec, exec, s[6:7]
.LBB66_9:
	s_or_b64 exec, exec, s[0:1]
	v_cmp_lt_u32_e32 vcc, 1, v0
	s_barrier
	ds_write_b32 v5, v2
	s_waitcnt lgkmcnt(0)
	s_barrier
	s_and_saveexec_b64 s[0:1], vcc
	s_cbranch_execz .LBB66_13
; %bb.10:
	v_add_u32_e32 v6, -16, v1
	ds_read_b64 v[6:7], v6
	s_waitcnt lgkmcnt(0)
	v_cmp_eq_u64_e32 vcc, v[3:4], v[6:7]
	s_and_saveexec_b64 s[6:7], vcc
	s_cbranch_execz .LBB66_12
; %bb.11:
	v_add_u32_e32 v6, -8, v5
	ds_read_b32 v6, v6
	s_waitcnt lgkmcnt(0)
	v_add_f32_e32 v2, v2, v6
.LBB66_12:
	s_or_b64 exec, exec, s[6:7]
.LBB66_13:
	s_or_b64 exec, exec, s[0:1]
	v_cmp_lt_u32_e32 vcc, 3, v0
	s_barrier
	ds_write_b32 v5, v2
	s_waitcnt lgkmcnt(0)
	s_barrier
	s_and_saveexec_b64 s[0:1], vcc
	s_cbranch_execz .LBB66_17
; %bb.14:
	v_subrev_u32_e32 v6, 32, v1
	ds_read_b64 v[6:7], v6
	s_waitcnt lgkmcnt(0)
	v_cmp_eq_u64_e32 vcc, v[3:4], v[6:7]
	s_and_saveexec_b64 s[6:7], vcc
	s_cbranch_execz .LBB66_16
; %bb.15:
	v_add_u32_e32 v6, -16, v5
	ds_read_b32 v6, v6
	s_waitcnt lgkmcnt(0)
	v_add_f32_e32 v2, v2, v6
.LBB66_16:
	s_or_b64 exec, exec, s[6:7]
.LBB66_17:
	s_or_b64 exec, exec, s[0:1]
	v_cmp_lt_u32_e32 vcc, 7, v0
	s_barrier
	ds_write_b32 v5, v2
	s_waitcnt lgkmcnt(0)
	s_barrier
	s_and_saveexec_b64 s[0:1], vcc
	s_cbranch_execz .LBB66_21
; %bb.18:
	v_subrev_u32_e32 v6, 64, v1
	ds_read_b64 v[6:7], v6
	s_waitcnt lgkmcnt(0)
	v_cmp_eq_u64_e32 vcc, v[3:4], v[6:7]
	s_and_saveexec_b64 s[6:7], vcc
	s_cbranch_execz .LBB66_20
; %bb.19:
	v_subrev_u32_e32 v6, 32, v5
	ds_read_b32 v6, v6
	s_waitcnt lgkmcnt(0)
	v_add_f32_e32 v2, v2, v6
.LBB66_20:
	s_or_b64 exec, exec, s[6:7]
.LBB66_21:
	s_or_b64 exec, exec, s[0:1]
	v_cmp_lt_u32_e32 vcc, 15, v0
	s_barrier
	ds_write_b32 v5, v2
	s_waitcnt lgkmcnt(0)
	s_barrier
	s_and_saveexec_b64 s[0:1], vcc
	s_cbranch_execz .LBB66_25
; %bb.22:
	v_add_u32_e32 v6, 0xffffff80, v1
	ds_read_b64 v[6:7], v6
	s_waitcnt lgkmcnt(0)
	v_cmp_eq_u64_e32 vcc, v[3:4], v[6:7]
	s_and_saveexec_b64 s[6:7], vcc
	s_cbranch_execz .LBB66_24
; %bb.23:
	v_subrev_u32_e32 v6, 64, v5
	ds_read_b32 v6, v6
	s_waitcnt lgkmcnt(0)
	v_add_f32_e32 v2, v2, v6
.LBB66_24:
	s_or_b64 exec, exec, s[6:7]
.LBB66_25:
	s_or_b64 exec, exec, s[0:1]
	v_cmp_lt_u32_e32 vcc, 31, v0
	s_barrier
	ds_write_b32 v5, v2
	s_waitcnt lgkmcnt(0)
	s_barrier
	s_and_saveexec_b64 s[0:1], vcc
	s_cbranch_execz .LBB66_29
; %bb.26:
	v_add_u32_e32 v6, 0xffffff00, v1
	ds_read_b64 v[6:7], v6
	s_waitcnt lgkmcnt(0)
	v_cmp_eq_u64_e32 vcc, v[3:4], v[6:7]
	s_and_saveexec_b64 s[6:7], vcc
	s_cbranch_execz .LBB66_28
; %bb.27:
	v_add_u32_e32 v6, 0xffffff80, v5
	ds_read_b32 v6, v6
	s_waitcnt lgkmcnt(0)
	v_add_f32_e32 v2, v2, v6
.LBB66_28:
	s_or_b64 exec, exec, s[6:7]
.LBB66_29:
	s_or_b64 exec, exec, s[0:1]
	v_cmp_lt_u32_e32 vcc, 63, v0
	s_barrier
	ds_write_b32 v5, v2
	s_waitcnt lgkmcnt(0)
	s_barrier
	s_and_saveexec_b64 s[0:1], vcc
	s_cbranch_execz .LBB66_33
; %bb.30:
	v_add_u32_e32 v6, 0xfffffe00, v1
	ds_read_b64 v[6:7], v6
	s_waitcnt lgkmcnt(0)
	v_cmp_eq_u64_e32 vcc, v[3:4], v[6:7]
	s_and_saveexec_b64 s[6:7], vcc
	s_cbranch_execz .LBB66_32
; %bb.31:
	v_add_u32_e32 v6, 0xffffff00, v5
	ds_read_b32 v6, v6
	s_waitcnt lgkmcnt(0)
	v_add_f32_e32 v2, v2, v6
.LBB66_32:
	s_or_b64 exec, exec, s[6:7]
.LBB66_33:
	s_or_b64 exec, exec, s[0:1]
	s_load_dwordx2 s[4:5], s[4:5], 0x30
	s_movk_i32 s0, 0x7f
	v_cmp_lt_u32_e32 vcc, s0, v0
	s_waitcnt lgkmcnt(0)
	s_barrier
	ds_write_b32 v5, v2
	s_waitcnt lgkmcnt(0)
	s_barrier
	s_and_saveexec_b64 s[0:1], vcc
	s_cbranch_execz .LBB66_37
; %bb.34:
	v_add_u32_e32 v6, 0xfffffc00, v1
	ds_read_b64 v[6:7], v6
	s_waitcnt lgkmcnt(0)
	v_cmp_eq_u64_e32 vcc, v[3:4], v[6:7]
	s_and_saveexec_b64 s[6:7], vcc
	s_cbranch_execz .LBB66_36
; %bb.35:
	v_add_u32_e32 v6, 0xfffffe00, v5
	ds_read_b32 v6, v6
	s_waitcnt lgkmcnt(0)
	v_add_f32_e32 v2, v2, v6
.LBB66_36:
	s_or_b64 exec, exec, s[6:7]
.LBB66_37:
	s_or_b64 exec, exec, s[0:1]
	s_movk_i32 s3, 0xff
	v_cmp_gt_u32_e32 vcc, s3, v0
	s_barrier
	ds_write_b32 v5, v2
	s_waitcnt lgkmcnt(0)
	s_barrier
	s_and_saveexec_b64 s[6:7], vcc
	s_cbranch_execz .LBB66_41
; %bb.38:
	ds_read_b64 v[5:6], v1 offset:8
	v_cmp_lt_i64_e64 s[0:1], -1, v[3:4]
	s_waitcnt lgkmcnt(0)
	v_cmp_ne_u64_e32 vcc, v[3:4], v[5:6]
	s_and_b64 s[0:1], s[0:1], vcc
	s_and_b64 exec, exec, s[0:1]
	s_cbranch_execz .LBB66_41
; %bb.39:
	v_lshlrev_b64 v[5:6], 2, v[3:4]
	v_mov_b32_e32 v1, s5
	v_add_co_u32_e32 v5, vcc, s4, v5
	v_addc_co_u32_e32 v6, vcc, v1, v6, vcc
	global_load_dword v8, v[5:6], off
	v_mul_f32_e32 v1, s2, v2
	s_mov_b64 s[0:1], 0
.LBB66_40:                              ; =>This Inner Loop Header: Depth=1
	s_waitcnt vmcnt(0)
	v_add_f32_e32 v7, v8, v1
	global_atomic_cmpswap v7, v[5:6], v[7:8], off glc
	s_waitcnt vmcnt(0)
	v_cmp_eq_u32_e32 vcc, v7, v8
	s_or_b64 s[0:1], vcc, s[0:1]
	v_mov_b32_e32 v8, v7
	s_andn2_b64 exec, exec, s[0:1]
	s_cbranch_execnz .LBB66_40
.LBB66_41:
	s_or_b64 exec, exec, s[6:7]
	v_cmp_lt_i64_e32 vcc, -1, v[3:4]
	v_cmp_eq_u32_e64 s[0:1], s3, v0
	s_and_b64 s[0:1], s[0:1], vcc
	s_and_saveexec_b64 s[6:7], s[0:1]
	s_cbranch_execz .LBB66_44
; %bb.42:
	v_lshlrev_b64 v[0:1], 2, v[3:4]
	v_mov_b32_e32 v3, s5
	v_add_co_u32_e32 v0, vcc, s4, v0
	v_addc_co_u32_e32 v1, vcc, v3, v1, vcc
	global_load_dword v3, v[0:1], off
	v_mul_f32_e32 v4, s2, v2
	s_mov_b64 s[0:1], 0
.LBB66_43:                              ; =>This Inner Loop Header: Depth=1
	s_waitcnt vmcnt(0)
	v_add_f32_e32 v2, v3, v4
	global_atomic_cmpswap v2, v[0:1], v[2:3], off glc
	s_waitcnt vmcnt(0)
	v_cmp_eq_u32_e32 vcc, v2, v3
	s_or_b64 s[0:1], vcc, s[0:1]
	v_mov_b32_e32 v3, v2
	s_andn2_b64 exec, exec, s[0:1]
	s_cbranch_execnz .LBB66_43
.LBB66_44:
	s_endpgm
	.section	.rodata,"a",@progbits
	.p2align	6, 0x0
	.amdhsa_kernel _ZN9rocsparseL19coomvn_atomic_loopsILj256ELj1ElDF16_DF16_ffEEvlNS_24const_host_device_scalarIT5_EEPKT1_S6_PKT2_PKT3_PT4_21rocsparse_index_base_b
		.amdhsa_group_segment_fixed_size 3072
		.amdhsa_private_segment_fixed_size 0
		.amdhsa_kernarg_size 64
		.amdhsa_user_sgpr_count 6
		.amdhsa_user_sgpr_private_segment_buffer 1
		.amdhsa_user_sgpr_dispatch_ptr 0
		.amdhsa_user_sgpr_queue_ptr 0
		.amdhsa_user_sgpr_kernarg_segment_ptr 1
		.amdhsa_user_sgpr_dispatch_id 0
		.amdhsa_user_sgpr_flat_scratch_init 0
		.amdhsa_user_sgpr_private_segment_size 0
		.amdhsa_uses_dynamic_stack 0
		.amdhsa_system_sgpr_private_segment_wavefront_offset 0
		.amdhsa_system_sgpr_workgroup_id_x 1
		.amdhsa_system_sgpr_workgroup_id_y 0
		.amdhsa_system_sgpr_workgroup_id_z 0
		.amdhsa_system_sgpr_workgroup_info 0
		.amdhsa_system_vgpr_workitem_id 0
		.amdhsa_next_free_vgpr 10
		.amdhsa_next_free_sgpr 18
		.amdhsa_reserve_vcc 1
		.amdhsa_reserve_flat_scratch 0
		.amdhsa_float_round_mode_32 0
		.amdhsa_float_round_mode_16_64 0
		.amdhsa_float_denorm_mode_32 3
		.amdhsa_float_denorm_mode_16_64 3
		.amdhsa_dx10_clamp 1
		.amdhsa_ieee_mode 1
		.amdhsa_fp16_overflow 0
		.amdhsa_exception_fp_ieee_invalid_op 0
		.amdhsa_exception_fp_denorm_src 0
		.amdhsa_exception_fp_ieee_div_zero 0
		.amdhsa_exception_fp_ieee_overflow 0
		.amdhsa_exception_fp_ieee_underflow 0
		.amdhsa_exception_fp_ieee_inexact 0
		.amdhsa_exception_int_div_zero 0
	.end_amdhsa_kernel
	.section	.text._ZN9rocsparseL19coomvn_atomic_loopsILj256ELj1ElDF16_DF16_ffEEvlNS_24const_host_device_scalarIT5_EEPKT1_S6_PKT2_PKT3_PT4_21rocsparse_index_base_b,"axG",@progbits,_ZN9rocsparseL19coomvn_atomic_loopsILj256ELj1ElDF16_DF16_ffEEvlNS_24const_host_device_scalarIT5_EEPKT1_S6_PKT2_PKT3_PT4_21rocsparse_index_base_b,comdat
.Lfunc_end66:
	.size	_ZN9rocsparseL19coomvn_atomic_loopsILj256ELj1ElDF16_DF16_ffEEvlNS_24const_host_device_scalarIT5_EEPKT1_S6_PKT2_PKT3_PT4_21rocsparse_index_base_b, .Lfunc_end66-_ZN9rocsparseL19coomvn_atomic_loopsILj256ELj1ElDF16_DF16_ffEEvlNS_24const_host_device_scalarIT5_EEPKT1_S6_PKT2_PKT3_PT4_21rocsparse_index_base_b
                                        ; -- End function
	.set _ZN9rocsparseL19coomvn_atomic_loopsILj256ELj1ElDF16_DF16_ffEEvlNS_24const_host_device_scalarIT5_EEPKT1_S6_PKT2_PKT3_PT4_21rocsparse_index_base_b.num_vgpr, 10
	.set _ZN9rocsparseL19coomvn_atomic_loopsILj256ELj1ElDF16_DF16_ffEEvlNS_24const_host_device_scalarIT5_EEPKT1_S6_PKT2_PKT3_PT4_21rocsparse_index_base_b.num_agpr, 0
	.set _ZN9rocsparseL19coomvn_atomic_loopsILj256ELj1ElDF16_DF16_ffEEvlNS_24const_host_device_scalarIT5_EEPKT1_S6_PKT2_PKT3_PT4_21rocsparse_index_base_b.numbered_sgpr, 18
	.set _ZN9rocsparseL19coomvn_atomic_loopsILj256ELj1ElDF16_DF16_ffEEvlNS_24const_host_device_scalarIT5_EEPKT1_S6_PKT2_PKT3_PT4_21rocsparse_index_base_b.num_named_barrier, 0
	.set _ZN9rocsparseL19coomvn_atomic_loopsILj256ELj1ElDF16_DF16_ffEEvlNS_24const_host_device_scalarIT5_EEPKT1_S6_PKT2_PKT3_PT4_21rocsparse_index_base_b.private_seg_size, 0
	.set _ZN9rocsparseL19coomvn_atomic_loopsILj256ELj1ElDF16_DF16_ffEEvlNS_24const_host_device_scalarIT5_EEPKT1_S6_PKT2_PKT3_PT4_21rocsparse_index_base_b.uses_vcc, 1
	.set _ZN9rocsparseL19coomvn_atomic_loopsILj256ELj1ElDF16_DF16_ffEEvlNS_24const_host_device_scalarIT5_EEPKT1_S6_PKT2_PKT3_PT4_21rocsparse_index_base_b.uses_flat_scratch, 0
	.set _ZN9rocsparseL19coomvn_atomic_loopsILj256ELj1ElDF16_DF16_ffEEvlNS_24const_host_device_scalarIT5_EEPKT1_S6_PKT2_PKT3_PT4_21rocsparse_index_base_b.has_dyn_sized_stack, 0
	.set _ZN9rocsparseL19coomvn_atomic_loopsILj256ELj1ElDF16_DF16_ffEEvlNS_24const_host_device_scalarIT5_EEPKT1_S6_PKT2_PKT3_PT4_21rocsparse_index_base_b.has_recursion, 0
	.set _ZN9rocsparseL19coomvn_atomic_loopsILj256ELj1ElDF16_DF16_ffEEvlNS_24const_host_device_scalarIT5_EEPKT1_S6_PKT2_PKT3_PT4_21rocsparse_index_base_b.has_indirect_call, 0
	.section	.AMDGPU.csdata,"",@progbits
; Kernel info:
; codeLenInByte = 1284
; TotalNumSgprs: 22
; NumVgprs: 10
; ScratchSize: 0
; MemoryBound: 0
; FloatMode: 240
; IeeeMode: 1
; LDSByteSize: 3072 bytes/workgroup (compile time only)
; SGPRBlocks: 2
; VGPRBlocks: 2
; NumSGPRsForWavesPerEU: 22
; NumVGPRsForWavesPerEU: 10
; Occupancy: 10
; WaveLimiterHint : 1
; COMPUTE_PGM_RSRC2:SCRATCH_EN: 0
; COMPUTE_PGM_RSRC2:USER_SGPR: 6
; COMPUTE_PGM_RSRC2:TRAP_HANDLER: 0
; COMPUTE_PGM_RSRC2:TGID_X_EN: 1
; COMPUTE_PGM_RSRC2:TGID_Y_EN: 0
; COMPUTE_PGM_RSRC2:TGID_Z_EN: 0
; COMPUTE_PGM_RSRC2:TIDIG_COMP_CNT: 0
	.section	.text._ZN9rocsparseL19coomvn_atomic_loopsILj256ELj2ElDF16_DF16_ffEEvlNS_24const_host_device_scalarIT5_EEPKT1_S6_PKT2_PKT3_PT4_21rocsparse_index_base_b,"axG",@progbits,_ZN9rocsparseL19coomvn_atomic_loopsILj256ELj2ElDF16_DF16_ffEEvlNS_24const_host_device_scalarIT5_EEPKT1_S6_PKT2_PKT3_PT4_21rocsparse_index_base_b,comdat
	.globl	_ZN9rocsparseL19coomvn_atomic_loopsILj256ELj2ElDF16_DF16_ffEEvlNS_24const_host_device_scalarIT5_EEPKT1_S6_PKT2_PKT3_PT4_21rocsparse_index_base_b ; -- Begin function _ZN9rocsparseL19coomvn_atomic_loopsILj256ELj2ElDF16_DF16_ffEEvlNS_24const_host_device_scalarIT5_EEPKT1_S6_PKT2_PKT3_PT4_21rocsparse_index_base_b
	.p2align	8
	.type	_ZN9rocsparseL19coomvn_atomic_loopsILj256ELj2ElDF16_DF16_ffEEvlNS_24const_host_device_scalarIT5_EEPKT1_S6_PKT2_PKT3_PT4_21rocsparse_index_base_b,@function
_ZN9rocsparseL19coomvn_atomic_loopsILj256ELj2ElDF16_DF16_ffEEvlNS_24const_host_device_scalarIT5_EEPKT1_S6_PKT2_PKT3_PT4_21rocsparse_index_base_b: ; @_ZN9rocsparseL19coomvn_atomic_loopsILj256ELj2ElDF16_DF16_ffEEvlNS_24const_host_device_scalarIT5_EEPKT1_S6_PKT2_PKT3_PT4_21rocsparse_index_base_b
; %bb.0:
	s_load_dwordx2 s[34:35], s[4:5], 0x38
	s_load_dwordx4 s[36:39], s[4:5], 0x0
	s_waitcnt lgkmcnt(0)
	s_bitcmp1_b32 s35, 0
	s_cselect_b64 s[0:1], -1, 0
	s_and_b64 vcc, exec, s[0:1]
	s_cbranch_vccnz .LBB67_2
; %bb.1:
	s_load_dword s38, s[38:39], 0x0
.LBB67_2:
	s_waitcnt lgkmcnt(0)
	v_cmp_eq_f32_e64 s[0:1], s38, 0
	s_and_b64 vcc, exec, s[0:1]
	s_cbranch_vccnz .LBB67_92
; %bb.3:
	s_load_dwordx8 s[24:31], s[4:5], 0x10
	v_lshl_or_b32 v5, s6, 9, v0
	v_mov_b32_e32 v6, 0
	v_cmp_gt_i64_e32 vcc, s[36:37], v[5:6]
	v_mov_b32_e32 v7, -1
	v_lshlrev_b64 v[1:2], 3, v[5:6]
	v_lshlrev_b64 v[3:4], 1, v[5:6]
	v_mov_b32_e32 v8, -1
	s_and_saveexec_b64 s[0:1], vcc
	s_cbranch_execz .LBB67_5
; %bb.4:
	s_waitcnt lgkmcnt(0)
	v_mov_b32_e32 v7, s27
	v_add_co_u32_e32 v6, vcc, s26, v1
	v_addc_co_u32_e32 v7, vcc, v7, v2, vcc
	global_load_dwordx2 v[6:7], v[6:7], off glc slc
	v_mov_b32_e32 v9, s29
	v_add_co_u32_e32 v8, vcc, s28, v3
	v_addc_co_u32_e32 v9, vcc, v9, v4, vcc
	v_mov_b32_e32 v11, s31
	global_load_ushort v9, v[8:9], off
	v_mov_b32_e32 v10, s25
	s_waitcnt vmcnt(1)
	v_subrev_co_u32_e32 v6, vcc, s34, v6
	v_subbrev_co_u32_e32 v7, vcc, 0, v7, vcc
	v_lshlrev_b64 v[6:7], 1, v[6:7]
	v_add_co_u32_e32 v6, vcc, s30, v6
	v_addc_co_u32_e32 v7, vcc, v11, v7, vcc
	global_load_ushort v11, v[6:7], off
	v_add_co_u32_e32 v6, vcc, s24, v1
	v_addc_co_u32_e32 v7, vcc, v10, v2, vcc
	global_load_dwordx2 v[7:8], v[6:7], off glc slc
	s_waitcnt vmcnt(2)
	v_cvt_f32_f16_e32 v6, v9
	s_waitcnt vmcnt(1)
	v_cvt_f32_f16_e32 v9, v11
	v_mul_f32_e32 v6, v6, v9
	s_waitcnt vmcnt(0)
	v_subrev_co_u32_e32 v7, vcc, s34, v7
	v_subbrev_co_u32_e32 v8, vcc, 0, v8, vcc
.LBB67_5:
	s_or_b64 exec, exec, s[0:1]
	v_lshlrev_b32_e32 v11, 3, v0
	v_lshlrev_b32_e32 v9, 2, v0
	v_or_b32_e32 v12, 0x800, v9
	v_cmp_eq_u32_e64 s[18:19], 0, v0
	v_cmp_ne_u32_e64 s[0:1], 0, v0
	v_add_u32_e32 v13, -8, v11
	ds_write_b64 v11, v[7:8]
	ds_write_b32 v9, v6 offset:2048
	s_waitcnt lgkmcnt(0)
	s_barrier
	s_and_saveexec_b64 s[2:3], s[0:1]
	s_cbranch_execz .LBB67_9
; %bb.6:
	ds_read_b64 v[9:10], v13
	s_waitcnt lgkmcnt(0)
	v_cmp_eq_u64_e32 vcc, v[7:8], v[9:10]
	s_and_saveexec_b64 s[6:7], vcc
	s_cbranch_execz .LBB67_8
; %bb.7:
	v_add_u32_e32 v9, -4, v12
	ds_read_b32 v9, v9
	s_waitcnt lgkmcnt(0)
	v_add_f32_e32 v6, v6, v9
.LBB67_8:
	s_or_b64 exec, exec, s[6:7]
.LBB67_9:
	s_or_b64 exec, exec, s[2:3]
	v_cmp_lt_u32_e64 s[2:3], 1, v0
	v_add_u32_e32 v14, -16, v11
	s_barrier
	ds_write_b32 v12, v6
	s_waitcnt lgkmcnt(0)
	s_barrier
	s_and_saveexec_b64 s[6:7], s[2:3]
	s_cbranch_execz .LBB67_13
; %bb.10:
	ds_read_b64 v[9:10], v14
	s_waitcnt lgkmcnt(0)
	v_cmp_eq_u64_e32 vcc, v[7:8], v[9:10]
	s_and_saveexec_b64 s[8:9], vcc
	s_cbranch_execz .LBB67_12
; %bb.11:
	v_add_u32_e32 v9, -8, v12
	ds_read_b32 v9, v9
	s_waitcnt lgkmcnt(0)
	v_add_f32_e32 v6, v6, v9
.LBB67_12:
	s_or_b64 exec, exec, s[8:9]
.LBB67_13:
	s_or_b64 exec, exec, s[6:7]
	v_cmp_lt_u32_e64 s[20:21], 3, v0
	v_subrev_u32_e32 v15, 32, v11
	s_barrier
	ds_write_b32 v12, v6
	s_waitcnt lgkmcnt(0)
	s_barrier
	s_and_saveexec_b64 s[6:7], s[20:21]
	s_cbranch_execz .LBB67_17
; %bb.14:
	ds_read_b64 v[9:10], v15
	s_waitcnt lgkmcnt(0)
	v_cmp_eq_u64_e32 vcc, v[7:8], v[9:10]
	s_and_saveexec_b64 s[8:9], vcc
	s_cbranch_execz .LBB67_16
; %bb.15:
	v_add_u32_e32 v9, -16, v12
	ds_read_b32 v9, v9
	s_waitcnt lgkmcnt(0)
	v_add_f32_e32 v6, v6, v9
.LBB67_16:
	s_or_b64 exec, exec, s[8:9]
.LBB67_17:
	s_or_b64 exec, exec, s[6:7]
	v_cmp_lt_u32_e64 s[6:7], 7, v0
	v_subrev_u32_e32 v16, 64, v11
	s_barrier
	ds_write_b32 v12, v6
	s_waitcnt lgkmcnt(0)
	s_barrier
	s_and_saveexec_b64 s[8:9], s[6:7]
	s_cbranch_execz .LBB67_21
; %bb.18:
	ds_read_b64 v[9:10], v16
	s_waitcnt lgkmcnt(0)
	v_cmp_eq_u64_e32 vcc, v[7:8], v[9:10]
	s_and_saveexec_b64 s[10:11], vcc
	s_cbranch_execz .LBB67_20
; %bb.19:
	v_subrev_u32_e32 v9, 32, v12
	ds_read_b32 v9, v9
	s_waitcnt lgkmcnt(0)
	v_add_f32_e32 v6, v6, v9
.LBB67_20:
	s_or_b64 exec, exec, s[10:11]
.LBB67_21:
	s_or_b64 exec, exec, s[8:9]
	v_cmp_lt_u32_e64 s[8:9], 15, v0
	s_barrier
	ds_write_b32 v12, v6
	s_waitcnt lgkmcnt(0)
	s_barrier
	s_and_saveexec_b64 s[10:11], s[8:9]
	s_cbranch_execz .LBB67_25
; %bb.22:
	v_add_u32_e32 v9, 0xffffff80, v11
	ds_read_b64 v[9:10], v9
	s_waitcnt lgkmcnt(0)
	v_cmp_eq_u64_e32 vcc, v[7:8], v[9:10]
	s_and_saveexec_b64 s[12:13], vcc
	s_cbranch_execz .LBB67_24
; %bb.23:
	v_subrev_u32_e32 v9, 64, v12
	ds_read_b32 v9, v9
	s_waitcnt lgkmcnt(0)
	v_add_f32_e32 v6, v6, v9
.LBB67_24:
	s_or_b64 exec, exec, s[12:13]
.LBB67_25:
	s_or_b64 exec, exec, s[10:11]
	v_cmp_lt_u32_e64 s[10:11], 31, v0
	s_barrier
	ds_write_b32 v12, v6
	s_waitcnt lgkmcnt(0)
	s_barrier
	s_and_saveexec_b64 s[12:13], s[10:11]
	s_cbranch_execz .LBB67_29
; %bb.26:
	v_add_u32_e32 v9, 0xffffff00, v11
	ds_read_b64 v[9:10], v9
	s_waitcnt lgkmcnt(0)
	v_cmp_eq_u64_e32 vcc, v[7:8], v[9:10]
	s_and_saveexec_b64 s[14:15], vcc
	s_cbranch_execz .LBB67_28
; %bb.27:
	v_add_u32_e32 v9, 0xffffff80, v12
	ds_read_b32 v9, v9
	s_waitcnt lgkmcnt(0)
	v_add_f32_e32 v6, v6, v9
.LBB67_28:
	s_or_b64 exec, exec, s[14:15]
.LBB67_29:
	s_or_b64 exec, exec, s[12:13]
	v_cmp_lt_u32_e64 s[12:13], 63, v0
	s_barrier
	ds_write_b32 v12, v6
	s_waitcnt lgkmcnt(0)
	s_barrier
	s_and_saveexec_b64 s[14:15], s[12:13]
	s_cbranch_execz .LBB67_33
; %bb.30:
	v_add_u32_e32 v9, 0xfffffe00, v11
	ds_read_b64 v[9:10], v9
	s_waitcnt lgkmcnt(0)
	v_cmp_eq_u64_e32 vcc, v[7:8], v[9:10]
	s_and_saveexec_b64 s[16:17], vcc
	s_cbranch_execz .LBB67_32
; %bb.31:
	v_add_u32_e32 v9, 0xffffff00, v12
	ds_read_b32 v9, v9
	s_waitcnt lgkmcnt(0)
	v_add_f32_e32 v6, v6, v9
.LBB67_32:
	s_or_b64 exec, exec, s[16:17]
.LBB67_33:
	s_or_b64 exec, exec, s[14:15]
	s_load_dwordx2 s[22:23], s[4:5], 0x30
	s_movk_i32 s4, 0x7f
	v_cmp_lt_u32_e64 s[14:15], s4, v0
	s_waitcnt lgkmcnt(0)
	s_barrier
	ds_write_b32 v12, v6
	s_waitcnt lgkmcnt(0)
	s_barrier
	s_and_saveexec_b64 s[4:5], s[14:15]
	s_cbranch_execz .LBB67_37
; %bb.34:
	v_add_u32_e32 v9, 0xfffffc00, v11
	ds_read_b64 v[9:10], v9
	s_waitcnt lgkmcnt(0)
	v_cmp_eq_u64_e32 vcc, v[7:8], v[9:10]
	s_and_saveexec_b64 s[16:17], vcc
	s_cbranch_execz .LBB67_36
; %bb.35:
	v_add_u32_e32 v9, 0xfffffe00, v12
	ds_read_b32 v9, v9
	s_waitcnt lgkmcnt(0)
	v_add_f32_e32 v6, v6, v9
.LBB67_36:
	s_or_b64 exec, exec, s[16:17]
.LBB67_37:
	s_or_b64 exec, exec, s[4:5]
	s_movk_i32 s4, 0xff
	v_cmp_gt_u32_e64 s[16:17], s4, v0
	s_barrier
	ds_write_b32 v12, v6
	s_waitcnt lgkmcnt(0)
	s_barrier
	s_and_saveexec_b64 s[40:41], s[16:17]
	s_cbranch_execz .LBB67_41
; %bb.38:
	ds_read_b64 v[9:10], v11 offset:8
	v_cmp_lt_i64_e64 s[4:5], -1, v[7:8]
	s_waitcnt lgkmcnt(0)
	v_cmp_ne_u64_e32 vcc, v[7:8], v[9:10]
	s_and_b64 s[4:5], s[4:5], vcc
	s_and_b64 exec, exec, s[4:5]
	s_cbranch_execz .LBB67_41
; %bb.39:
	v_lshlrev_b64 v[7:8], 2, v[7:8]
	v_mov_b32_e32 v9, s23
	v_add_co_u32_e32 v7, vcc, s22, v7
	v_addc_co_u32_e32 v8, vcc, v9, v8, vcc
	global_load_dword v10, v[7:8], off
	v_mul_f32_e32 v6, s38, v6
	s_mov_b64 s[4:5], 0
.LBB67_40:                              ; =>This Inner Loop Header: Depth=1
	s_waitcnt vmcnt(0)
	v_add_f32_e32 v9, v10, v6
	global_atomic_cmpswap v9, v[7:8], v[9:10], off glc
	s_waitcnt vmcnt(0)
	v_cmp_eq_u32_e32 vcc, v9, v10
	s_or_b64 s[4:5], vcc, s[4:5]
	v_mov_b32_e32 v10, v9
	s_andn2_b64 exec, exec, s[4:5]
	s_cbranch_execnz .LBB67_40
.LBB67_41:
	s_or_b64 exec, exec, s[40:41]
	v_add_co_u32_e32 v5, vcc, 0x100, v5
	v_addc_co_u32_e64 v6, s[4:5], 0, 0, vcc
	v_cmp_gt_i64_e32 vcc, s[36:37], v[5:6]
	v_mov_b32_e32 v5, -1
	v_mov_b32_e32 v6, -1
	v_mov_b32_e32 v7, 0
	s_and_saveexec_b64 s[4:5], vcc
	s_cbranch_execz .LBB67_43
; %bb.42:
	v_mov_b32_e32 v6, s27
	v_add_co_u32_e32 v5, vcc, s26, v1
	v_addc_co_u32_e32 v6, vcc, v6, v2, vcc
	global_load_dwordx2 v[5:6], v[5:6], off offset:2048 glc slc
	v_mov_b32_e32 v8, s29
	v_add_co_u32_e32 v3, vcc, s28, v3
	v_addc_co_u32_e32 v4, vcc, v8, v4, vcc
	global_load_ushort v8, v[3:4], off offset:512
	v_mov_b32_e32 v9, s31
	v_mov_b32_e32 v7, s25
	s_waitcnt vmcnt(1)
	v_subrev_co_u32_e32 v3, vcc, s34, v5
	v_subbrev_co_u32_e32 v4, vcc, 0, v6, vcc
	v_lshlrev_b64 v[3:4], 1, v[3:4]
	v_add_co_u32_e32 v3, vcc, s30, v3
	v_addc_co_u32_e32 v4, vcc, v9, v4, vcc
	global_load_ushort v3, v[3:4], off
	v_add_co_u32_e32 v1, vcc, s24, v1
	v_addc_co_u32_e32 v2, vcc, v7, v2, vcc
	global_load_dwordx2 v[1:2], v[1:2], off offset:2048 glc slc
	s_waitcnt vmcnt(2)
	v_cvt_f32_f16_e32 v4, v8
	s_waitcnt vmcnt(1)
	v_cvt_f32_f16_e32 v3, v3
	v_mul_f32_e32 v7, v4, v3
	s_waitcnt vmcnt(0)
	v_subrev_co_u32_e32 v5, vcc, s34, v1
	v_subbrev_co_u32_e32 v6, vcc, 0, v2, vcc
.LBB67_43:
	s_or_b64 exec, exec, s[4:5]
	s_and_saveexec_b64 s[4:5], s[18:19]
	s_cbranch_execz .LBB67_53
; %bb.44:
	v_mov_b32_e32 v1, 0
	ds_read_b64 v[1:2], v1 offset:2040
	s_waitcnt lgkmcnt(0)
	v_cmp_ne_u64_e32 vcc, v[5:6], v[1:2]
	s_and_saveexec_b64 s[18:19], vcc
	s_xor_b64 s[18:19], exec, s[18:19]
	s_cbranch_execz .LBB67_50
; %bb.45:
	v_cmp_gt_i64_e32 vcc, 0, v[1:2]
	s_cbranch_vccnz .LBB67_50
; %bb.46:
	s_mov_b64 s[26:27], exec
	v_mbcnt_lo_u32_b32 v3, s26, 0
	v_mbcnt_hi_u32_b32 v3, s27, v3
	v_cmp_eq_u32_e32 vcc, 0, v3
	s_and_saveexec_b64 s[24:25], vcc
	s_cbranch_execz .LBB67_49
; %bb.47:
	v_lshlrev_b64 v[1:2], 2, v[1:2]
	v_mov_b32_e32 v3, s23
	v_add_co_u32_e32 v1, vcc, s22, v1
	v_addc_co_u32_e32 v2, vcc, v3, v2, vcc
	global_load_dword v4, v[1:2], off
	v_mov_b32_e32 v3, 0
	ds_read_b32 v3, v3 offset:3068
	s_bcnt1_i32_b64 s26, s[26:27]
	v_cvt_f32_ubyte0_e32 v8, s26
	s_mov_b64 s[26:27], 0
	s_waitcnt lgkmcnt(0)
	v_mul_f32_e32 v3, s38, v3
	v_mul_f32_e32 v8, v3, v8
.LBB67_48:                              ; =>This Inner Loop Header: Depth=1
	s_waitcnt vmcnt(0)
	v_add_f32_e32 v3, v4, v8
	global_atomic_cmpswap v3, v[1:2], v[3:4], off glc
	s_waitcnt vmcnt(0)
	v_cmp_eq_u32_e32 vcc, v3, v4
	s_or_b64 s[26:27], vcc, s[26:27]
	v_mov_b32_e32 v4, v3
	s_andn2_b64 exec, exec, s[26:27]
	s_cbranch_execnz .LBB67_48
.LBB67_49:
	s_or_b64 exec, exec, s[24:25]
.LBB67_50:
	s_andn2_saveexec_b64 s[18:19], s[18:19]
	s_cbranch_execz .LBB67_52
; %bb.51:
	v_mov_b32_e32 v1, 0
	ds_read_b32 v1, v1 offset:3068
	s_waitcnt lgkmcnt(0)
	v_add_f32_e32 v7, v7, v1
.LBB67_52:
	s_or_b64 exec, exec, s[18:19]
.LBB67_53:
	s_or_b64 exec, exec, s[4:5]
	s_barrier
	ds_write_b64 v11, v[5:6]
	ds_write_b32 v12, v7
	s_waitcnt lgkmcnt(0)
	s_barrier
	s_and_saveexec_b64 s[4:5], s[0:1]
	s_cbranch_execz .LBB67_57
; %bb.54:
	ds_read_b64 v[1:2], v13
	s_waitcnt lgkmcnt(0)
	v_cmp_eq_u64_e32 vcc, v[5:6], v[1:2]
	s_and_saveexec_b64 s[0:1], vcc
	s_cbranch_execz .LBB67_56
; %bb.55:
	v_add_u32_e32 v1, -4, v12
	ds_read_b32 v1, v1
	s_waitcnt lgkmcnt(0)
	v_add_f32_e32 v7, v7, v1
.LBB67_56:
	s_or_b64 exec, exec, s[0:1]
.LBB67_57:
	s_or_b64 exec, exec, s[4:5]
	s_barrier
	ds_write_b32 v12, v7
	s_waitcnt lgkmcnt(0)
	s_barrier
	s_and_saveexec_b64 s[0:1], s[2:3]
	s_cbranch_execz .LBB67_61
; %bb.58:
	ds_read_b64 v[1:2], v14
	s_waitcnt lgkmcnt(0)
	v_cmp_eq_u64_e32 vcc, v[5:6], v[1:2]
	s_and_saveexec_b64 s[2:3], vcc
	s_cbranch_execz .LBB67_60
; %bb.59:
	v_add_u32_e32 v1, -8, v12
	ds_read_b32 v1, v1
	s_waitcnt lgkmcnt(0)
	v_add_f32_e32 v7, v7, v1
.LBB67_60:
	s_or_b64 exec, exec, s[2:3]
.LBB67_61:
	s_or_b64 exec, exec, s[0:1]
	s_barrier
	;; [unrolled: 21-line block ×3, first 2 shown]
	ds_write_b32 v12, v7
	s_waitcnt lgkmcnt(0)
	s_barrier
	s_and_saveexec_b64 s[0:1], s[6:7]
	s_cbranch_execz .LBB67_69
; %bb.66:
	ds_read_b64 v[1:2], v16
	s_waitcnt lgkmcnt(0)
	v_cmp_eq_u64_e32 vcc, v[5:6], v[1:2]
	s_and_saveexec_b64 s[2:3], vcc
	s_cbranch_execz .LBB67_68
; %bb.67:
	v_subrev_u32_e32 v1, 32, v12
	ds_read_b32 v1, v1
	s_waitcnt lgkmcnt(0)
	v_add_f32_e32 v7, v7, v1
.LBB67_68:
	s_or_b64 exec, exec, s[2:3]
.LBB67_69:
	s_or_b64 exec, exec, s[0:1]
	s_barrier
	ds_write_b32 v12, v7
	s_waitcnt lgkmcnt(0)
	s_barrier
	s_and_saveexec_b64 s[0:1], s[8:9]
	s_cbranch_execz .LBB67_73
; %bb.70:
	v_add_u32_e32 v1, 0xffffff80, v11
	ds_read_b64 v[1:2], v1
	s_waitcnt lgkmcnt(0)
	v_cmp_eq_u64_e32 vcc, v[5:6], v[1:2]
	s_and_saveexec_b64 s[2:3], vcc
	s_cbranch_execz .LBB67_72
; %bb.71:
	v_subrev_u32_e32 v1, 64, v12
	ds_read_b32 v1, v1
	s_waitcnt lgkmcnt(0)
	v_add_f32_e32 v7, v7, v1
.LBB67_72:
	s_or_b64 exec, exec, s[2:3]
.LBB67_73:
	s_or_b64 exec, exec, s[0:1]
	s_barrier
	ds_write_b32 v12, v7
	s_waitcnt lgkmcnt(0)
	s_barrier
	s_and_saveexec_b64 s[0:1], s[10:11]
	s_cbranch_execz .LBB67_77
; %bb.74:
	v_add_u32_e32 v1, 0xffffff00, v11
	ds_read_b64 v[1:2], v1
	s_waitcnt lgkmcnt(0)
	v_cmp_eq_u64_e32 vcc, v[5:6], v[1:2]
	s_and_saveexec_b64 s[2:3], vcc
	s_cbranch_execz .LBB67_76
; %bb.75:
	v_add_u32_e32 v1, 0xffffff80, v12
	ds_read_b32 v1, v1
	s_waitcnt lgkmcnt(0)
	v_add_f32_e32 v7, v7, v1
.LBB67_76:
	s_or_b64 exec, exec, s[2:3]
.LBB67_77:
	s_or_b64 exec, exec, s[0:1]
	s_barrier
	ds_write_b32 v12, v7
	s_waitcnt lgkmcnt(0)
	s_barrier
	s_and_saveexec_b64 s[0:1], s[12:13]
	s_cbranch_execz .LBB67_81
; %bb.78:
	v_add_u32_e32 v1, 0xfffffe00, v11
	ds_read_b64 v[1:2], v1
	s_waitcnt lgkmcnt(0)
	v_cmp_eq_u64_e32 vcc, v[5:6], v[1:2]
	s_and_saveexec_b64 s[2:3], vcc
	s_cbranch_execz .LBB67_80
; %bb.79:
	v_add_u32_e32 v1, 0xffffff00, v12
	ds_read_b32 v1, v1
	s_waitcnt lgkmcnt(0)
	v_add_f32_e32 v7, v7, v1
.LBB67_80:
	s_or_b64 exec, exec, s[2:3]
.LBB67_81:
	;; [unrolled: 22-line block ×3, first 2 shown]
	s_or_b64 exec, exec, s[0:1]
	s_barrier
	ds_write_b32 v12, v7
	s_waitcnt lgkmcnt(0)
	s_barrier
	s_and_saveexec_b64 s[2:3], s[16:17]
	s_cbranch_execz .LBB67_89
; %bb.86:
	ds_read_b64 v[1:2], v11 offset:8
	v_cmp_lt_i64_e64 s[0:1], -1, v[5:6]
	s_waitcnt lgkmcnt(0)
	v_cmp_ne_u64_e32 vcc, v[5:6], v[1:2]
	s_and_b64 s[0:1], s[0:1], vcc
	s_and_b64 exec, exec, s[0:1]
	s_cbranch_execz .LBB67_89
; %bb.87:
	v_lshlrev_b64 v[1:2], 2, v[5:6]
	v_mov_b32_e32 v3, s23
	v_add_co_u32_e32 v1, vcc, s22, v1
	v_addc_co_u32_e32 v2, vcc, v3, v2, vcc
	global_load_dword v4, v[1:2], off
	v_mul_f32_e32 v8, s38, v7
	s_mov_b64 s[0:1], 0
.LBB67_88:                              ; =>This Inner Loop Header: Depth=1
	s_waitcnt vmcnt(0)
	v_add_f32_e32 v3, v4, v8
	global_atomic_cmpswap v3, v[1:2], v[3:4], off glc
	s_waitcnt vmcnt(0)
	v_cmp_eq_u32_e32 vcc, v3, v4
	s_or_b64 s[0:1], vcc, s[0:1]
	v_mov_b32_e32 v4, v3
	s_andn2_b64 exec, exec, s[0:1]
	s_cbranch_execnz .LBB67_88
.LBB67_89:
	s_or_b64 exec, exec, s[2:3]
	s_movk_i32 s0, 0xff
	v_cmp_lt_i64_e32 vcc, -1, v[5:6]
	v_cmp_eq_u32_e64 s[0:1], s0, v0
	s_and_b64 s[0:1], s[0:1], vcc
	s_and_saveexec_b64 s[2:3], s[0:1]
	s_cbranch_execz .LBB67_92
; %bb.90:
	v_lshlrev_b64 v[0:1], 2, v[5:6]
	v_mov_b32_e32 v2, s23
	v_add_co_u32_e32 v0, vcc, s22, v0
	v_addc_co_u32_e32 v1, vcc, v2, v1, vcc
	global_load_dword v3, v[0:1], off
	v_mul_f32_e32 v4, s38, v7
	s_mov_b64 s[0:1], 0
.LBB67_91:                              ; =>This Inner Loop Header: Depth=1
	s_waitcnt vmcnt(0)
	v_add_f32_e32 v2, v3, v4
	global_atomic_cmpswap v2, v[0:1], v[2:3], off glc
	s_waitcnt vmcnt(0)
	v_cmp_eq_u32_e32 vcc, v2, v3
	s_or_b64 s[0:1], vcc, s[0:1]
	v_mov_b32_e32 v3, v2
	s_andn2_b64 exec, exec, s[0:1]
	s_cbranch_execnz .LBB67_91
.LBB67_92:
	s_endpgm
	.section	.rodata,"a",@progbits
	.p2align	6, 0x0
	.amdhsa_kernel _ZN9rocsparseL19coomvn_atomic_loopsILj256ELj2ElDF16_DF16_ffEEvlNS_24const_host_device_scalarIT5_EEPKT1_S6_PKT2_PKT3_PT4_21rocsparse_index_base_b
		.amdhsa_group_segment_fixed_size 3072
		.amdhsa_private_segment_fixed_size 0
		.amdhsa_kernarg_size 64
		.amdhsa_user_sgpr_count 6
		.amdhsa_user_sgpr_private_segment_buffer 1
		.amdhsa_user_sgpr_dispatch_ptr 0
		.amdhsa_user_sgpr_queue_ptr 0
		.amdhsa_user_sgpr_kernarg_segment_ptr 1
		.amdhsa_user_sgpr_dispatch_id 0
		.amdhsa_user_sgpr_flat_scratch_init 0
		.amdhsa_user_sgpr_private_segment_size 0
		.amdhsa_uses_dynamic_stack 0
		.amdhsa_system_sgpr_private_segment_wavefront_offset 0
		.amdhsa_system_sgpr_workgroup_id_x 1
		.amdhsa_system_sgpr_workgroup_id_y 0
		.amdhsa_system_sgpr_workgroup_id_z 0
		.amdhsa_system_sgpr_workgroup_info 0
		.amdhsa_system_vgpr_workitem_id 0
		.amdhsa_next_free_vgpr 17
		.amdhsa_next_free_sgpr 42
		.amdhsa_reserve_vcc 1
		.amdhsa_reserve_flat_scratch 0
		.amdhsa_float_round_mode_32 0
		.amdhsa_float_round_mode_16_64 0
		.amdhsa_float_denorm_mode_32 3
		.amdhsa_float_denorm_mode_16_64 3
		.amdhsa_dx10_clamp 1
		.amdhsa_ieee_mode 1
		.amdhsa_fp16_overflow 0
		.amdhsa_exception_fp_ieee_invalid_op 0
		.amdhsa_exception_fp_denorm_src 0
		.amdhsa_exception_fp_ieee_div_zero 0
		.amdhsa_exception_fp_ieee_overflow 0
		.amdhsa_exception_fp_ieee_underflow 0
		.amdhsa_exception_fp_ieee_inexact 0
		.amdhsa_exception_int_div_zero 0
	.end_amdhsa_kernel
	.section	.text._ZN9rocsparseL19coomvn_atomic_loopsILj256ELj2ElDF16_DF16_ffEEvlNS_24const_host_device_scalarIT5_EEPKT1_S6_PKT2_PKT3_PT4_21rocsparse_index_base_b,"axG",@progbits,_ZN9rocsparseL19coomvn_atomic_loopsILj256ELj2ElDF16_DF16_ffEEvlNS_24const_host_device_scalarIT5_EEPKT1_S6_PKT2_PKT3_PT4_21rocsparse_index_base_b,comdat
.Lfunc_end67:
	.size	_ZN9rocsparseL19coomvn_atomic_loopsILj256ELj2ElDF16_DF16_ffEEvlNS_24const_host_device_scalarIT5_EEPKT1_S6_PKT2_PKT3_PT4_21rocsparse_index_base_b, .Lfunc_end67-_ZN9rocsparseL19coomvn_atomic_loopsILj256ELj2ElDF16_DF16_ffEEvlNS_24const_host_device_scalarIT5_EEPKT1_S6_PKT2_PKT3_PT4_21rocsparse_index_base_b
                                        ; -- End function
	.set _ZN9rocsparseL19coomvn_atomic_loopsILj256ELj2ElDF16_DF16_ffEEvlNS_24const_host_device_scalarIT5_EEPKT1_S6_PKT2_PKT3_PT4_21rocsparse_index_base_b.num_vgpr, 17
	.set _ZN9rocsparseL19coomvn_atomic_loopsILj256ELj2ElDF16_DF16_ffEEvlNS_24const_host_device_scalarIT5_EEPKT1_S6_PKT2_PKT3_PT4_21rocsparse_index_base_b.num_agpr, 0
	.set _ZN9rocsparseL19coomvn_atomic_loopsILj256ELj2ElDF16_DF16_ffEEvlNS_24const_host_device_scalarIT5_EEPKT1_S6_PKT2_PKT3_PT4_21rocsparse_index_base_b.numbered_sgpr, 42
	.set _ZN9rocsparseL19coomvn_atomic_loopsILj256ELj2ElDF16_DF16_ffEEvlNS_24const_host_device_scalarIT5_EEPKT1_S6_PKT2_PKT3_PT4_21rocsparse_index_base_b.num_named_barrier, 0
	.set _ZN9rocsparseL19coomvn_atomic_loopsILj256ELj2ElDF16_DF16_ffEEvlNS_24const_host_device_scalarIT5_EEPKT1_S6_PKT2_PKT3_PT4_21rocsparse_index_base_b.private_seg_size, 0
	.set _ZN9rocsparseL19coomvn_atomic_loopsILj256ELj2ElDF16_DF16_ffEEvlNS_24const_host_device_scalarIT5_EEPKT1_S6_PKT2_PKT3_PT4_21rocsparse_index_base_b.uses_vcc, 1
	.set _ZN9rocsparseL19coomvn_atomic_loopsILj256ELj2ElDF16_DF16_ffEEvlNS_24const_host_device_scalarIT5_EEPKT1_S6_PKT2_PKT3_PT4_21rocsparse_index_base_b.uses_flat_scratch, 0
	.set _ZN9rocsparseL19coomvn_atomic_loopsILj256ELj2ElDF16_DF16_ffEEvlNS_24const_host_device_scalarIT5_EEPKT1_S6_PKT2_PKT3_PT4_21rocsparse_index_base_b.has_dyn_sized_stack, 0
	.set _ZN9rocsparseL19coomvn_atomic_loopsILj256ELj2ElDF16_DF16_ffEEvlNS_24const_host_device_scalarIT5_EEPKT1_S6_PKT2_PKT3_PT4_21rocsparse_index_base_b.has_recursion, 0
	.set _ZN9rocsparseL19coomvn_atomic_loopsILj256ELj2ElDF16_DF16_ffEEvlNS_24const_host_device_scalarIT5_EEPKT1_S6_PKT2_PKT3_PT4_21rocsparse_index_base_b.has_indirect_call, 0
	.section	.AMDGPU.csdata,"",@progbits
; Kernel info:
; codeLenInByte = 2568
; TotalNumSgprs: 46
; NumVgprs: 17
; ScratchSize: 0
; MemoryBound: 0
; FloatMode: 240
; IeeeMode: 1
; LDSByteSize: 3072 bytes/workgroup (compile time only)
; SGPRBlocks: 5
; VGPRBlocks: 4
; NumSGPRsForWavesPerEU: 46
; NumVGPRsForWavesPerEU: 17
; Occupancy: 10
; WaveLimiterHint : 1
; COMPUTE_PGM_RSRC2:SCRATCH_EN: 0
; COMPUTE_PGM_RSRC2:USER_SGPR: 6
; COMPUTE_PGM_RSRC2:TRAP_HANDLER: 0
; COMPUTE_PGM_RSRC2:TGID_X_EN: 1
; COMPUTE_PGM_RSRC2:TGID_Y_EN: 0
; COMPUTE_PGM_RSRC2:TGID_Z_EN: 0
; COMPUTE_PGM_RSRC2:TIDIG_COMP_CNT: 0
	.section	.text._ZN9rocsparseL22coomvn_segmented_loopsILj256Ei18rocsparse_bfloat16S1_ffEEvlT0_NS_24const_host_device_scalarIT4_EEPKS2_S7_PKT1_PKT2_PT3_PS2_PS4_21rocsparse_index_base_b,"axG",@progbits,_ZN9rocsparseL22coomvn_segmented_loopsILj256Ei18rocsparse_bfloat16S1_ffEEvlT0_NS_24const_host_device_scalarIT4_EEPKS2_S7_PKT1_PKT2_PT3_PS2_PS4_21rocsparse_index_base_b,comdat
	.globl	_ZN9rocsparseL22coomvn_segmented_loopsILj256Ei18rocsparse_bfloat16S1_ffEEvlT0_NS_24const_host_device_scalarIT4_EEPKS2_S7_PKT1_PKT2_PT3_PS2_PS4_21rocsparse_index_base_b ; -- Begin function _ZN9rocsparseL22coomvn_segmented_loopsILj256Ei18rocsparse_bfloat16S1_ffEEvlT0_NS_24const_host_device_scalarIT4_EEPKS2_S7_PKT1_PKT2_PT3_PS2_PS4_21rocsparse_index_base_b
	.p2align	8
	.type	_ZN9rocsparseL22coomvn_segmented_loopsILj256Ei18rocsparse_bfloat16S1_ffEEvlT0_NS_24const_host_device_scalarIT4_EEPKS2_S7_PKT1_PKT2_PT3_PS2_PS4_21rocsparse_index_base_b,@function
_ZN9rocsparseL22coomvn_segmented_loopsILj256Ei18rocsparse_bfloat16S1_ffEEvlT0_NS_24const_host_device_scalarIT4_EEPKS2_S7_PKT1_PKT2_PT3_PS2_PS4_21rocsparse_index_base_b: ; @_ZN9rocsparseL22coomvn_segmented_loopsILj256Ei18rocsparse_bfloat16S1_ffEEvlT0_NS_24const_host_device_scalarIT4_EEPKS2_S7_PKT1_PKT2_PT3_PS2_PS4_21rocsparse_index_base_b
; %bb.0:
	s_load_dwordx2 s[30:31], s[4:5], 0x50
	s_load_dwordx2 s[28:29], s[4:5], 0x10
	s_waitcnt lgkmcnt(0)
	s_bitcmp1_b32 s31, 0
	s_cselect_b64 s[0:1], -1, 0
	s_and_b64 vcc, exec, s[0:1]
	s_cbranch_vccnz .LBB68_2
; %bb.1:
	s_load_dword s28, s[28:29], 0x0
.LBB68_2:
	s_waitcnt lgkmcnt(0)
	v_cmp_eq_f32_e64 s[0:1], s28, 0
	s_and_b64 vcc, exec, s[0:1]
	s_cbranch_vccnz .LBB68_89
; %bb.3:
	s_load_dword s33, s[4:5], 0x8
	s_load_dwordx2 s[34:35], s[4:5], 0x0
	s_load_dwordx8 s[36:43], s[4:5], 0x18
	v_mov_b32_e32 v2, 0
	v_mov_b32_e32 v3, -1
	s_waitcnt lgkmcnt(0)
	s_mul_i32 s0, s6, s33
	v_lshl_or_b32 v1, s0, 8, v0
	v_cmp_gt_i64_e32 vcc, s[34:35], v[1:2]
	v_lshlrev_b64 v[5:6], 2, v[1:2]
	v_lshlrev_b64 v[7:8], 1, v[1:2]
	s_and_saveexec_b64 s[0:1], vcc
	s_cbranch_execz .LBB68_5
; %bb.4:
	v_mov_b32_e32 v3, s39
	v_add_co_u32_e32 v2, vcc, s38, v5
	v_addc_co_u32_e32 v3, vcc, v3, v6, vcc
	global_load_dword v2, v[2:3], off glc slc
	v_mov_b32_e32 v4, s37
	v_add_co_u32_e32 v3, vcc, s36, v5
	v_addc_co_u32_e32 v4, vcc, v4, v6, vcc
	v_mov_b32_e32 v10, s41
	v_add_co_u32_e32 v9, vcc, s40, v7
	v_addc_co_u32_e32 v10, vcc, v10, v8, vcc
	global_load_dword v12, v[3:4], off glc slc
	global_load_ushort v13, v[9:10], off
	v_mov_b32_e32 v11, s43
	s_ashr_i32 s31, s30, 31
	s_lshl_b64 s[2:3], s[30:31], 1
	v_mov_b32_e32 v4, s3
	s_waitcnt vmcnt(2)
	v_ashrrev_i32_e32 v3, 31, v2
	v_lshlrev_b64 v[2:3], 1, v[2:3]
	v_add_co_u32_e32 v2, vcc, s42, v2
	v_addc_co_u32_e32 v3, vcc, v11, v3, vcc
	v_subrev_co_u32_e32 v2, vcc, s2, v2
	v_subb_co_u32_e32 v3, vcc, v3, v4, vcc
	global_load_ushort v2, v[2:3], off
	s_waitcnt vmcnt(1)
	v_lshlrev_b32_e32 v4, 16, v13
	v_subrev_u32_e32 v3, s30, v12
	s_waitcnt vmcnt(0)
	v_lshlrev_b32_e32 v2, 16, v2
	v_mul_f32_e32 v2, v4, v2
.LBB68_5:
	s_or_b64 exec, exec, s[0:1]
	v_lshlrev_b32_e32 v13, 2, v0
	v_or_b32_e32 v14, 0x400, v13
	v_cmp_eq_u32_e64 s[0:1], 0, v0
	v_cmp_ne_u32_e64 s[2:3], 0, v0
	v_add_u32_e32 v15, -4, v13
	ds_write2st64_b32 v13, v3, v2 offset1:4
	s_waitcnt lgkmcnt(0)
	s_barrier
	s_and_saveexec_b64 s[8:9], s[2:3]
	s_cbranch_execz .LBB68_9
; %bb.6:
	ds_read_b32 v4, v15
	s_waitcnt lgkmcnt(0)
	v_cmp_eq_u32_e32 vcc, v3, v4
	s_and_saveexec_b64 s[10:11], vcc
	s_cbranch_execz .LBB68_8
; %bb.7:
	v_add_u32_e32 v4, -4, v14
	ds_read_b32 v4, v4
	s_waitcnt lgkmcnt(0)
	v_add_f32_e32 v2, v2, v4
.LBB68_8:
	s_or_b64 exec, exec, s[10:11]
.LBB68_9:
	s_or_b64 exec, exec, s[8:9]
	v_cmp_lt_u32_e64 s[22:23], 1, v0
	v_add_u32_e32 v16, -8, v13
	s_barrier
	ds_write_b32 v14, v2
	s_waitcnt lgkmcnt(0)
	s_barrier
	s_and_saveexec_b64 s[8:9], s[22:23]
	s_cbranch_execz .LBB68_13
; %bb.10:
	ds_read_b32 v4, v16
	s_waitcnt lgkmcnt(0)
	v_cmp_eq_u32_e32 vcc, v3, v4
	s_and_saveexec_b64 s[10:11], vcc
	s_cbranch_execz .LBB68_12
; %bb.11:
	v_add_u32_e32 v4, -8, v14
	ds_read_b32 v4, v4
	s_waitcnt lgkmcnt(0)
	v_add_f32_e32 v2, v2, v4
.LBB68_12:
	s_or_b64 exec, exec, s[10:11]
.LBB68_13:
	s_or_b64 exec, exec, s[8:9]
	v_cmp_lt_u32_e64 s[8:9], 3, v0
	v_add_u32_e32 v17, -16, v13
	s_barrier
	ds_write_b32 v14, v2
	s_waitcnt lgkmcnt(0)
	s_barrier
	s_and_saveexec_b64 s[10:11], s[8:9]
	s_cbranch_execz .LBB68_17
; %bb.14:
	ds_read_b32 v4, v17
	s_waitcnt lgkmcnt(0)
	v_cmp_eq_u32_e32 vcc, v3, v4
	s_and_saveexec_b64 s[12:13], vcc
	s_cbranch_execz .LBB68_16
; %bb.15:
	v_add_u32_e32 v4, -16, v14
	ds_read_b32 v4, v4
	s_waitcnt lgkmcnt(0)
	v_add_f32_e32 v2, v2, v4
.LBB68_16:
	s_or_b64 exec, exec, s[12:13]
.LBB68_17:
	s_or_b64 exec, exec, s[10:11]
	v_cmp_lt_u32_e64 s[10:11], 7, v0
	v_subrev_u32_e32 v18, 32, v13
	s_barrier
	ds_write_b32 v14, v2
	s_waitcnt lgkmcnt(0)
	s_barrier
	s_and_saveexec_b64 s[12:13], s[10:11]
	s_cbranch_execz .LBB68_21
; %bb.18:
	ds_read_b32 v4, v18
	s_waitcnt lgkmcnt(0)
	v_cmp_eq_u32_e32 vcc, v3, v4
	s_and_saveexec_b64 s[14:15], vcc
	s_cbranch_execz .LBB68_20
; %bb.19:
	v_subrev_u32_e32 v4, 32, v14
	ds_read_b32 v4, v4
	s_waitcnt lgkmcnt(0)
	v_add_f32_e32 v2, v2, v4
.LBB68_20:
	s_or_b64 exec, exec, s[14:15]
.LBB68_21:
	s_or_b64 exec, exec, s[12:13]
	v_cmp_lt_u32_e64 s[12:13], 15, v0
	v_subrev_u32_e32 v19, 64, v13
	s_barrier
	ds_write_b32 v14, v2
	s_waitcnt lgkmcnt(0)
	s_barrier
	s_and_saveexec_b64 s[14:15], s[12:13]
	s_cbranch_execz .LBB68_25
; %bb.22:
	ds_read_b32 v4, v19
	s_waitcnt lgkmcnt(0)
	v_cmp_eq_u32_e32 vcc, v3, v4
	s_and_saveexec_b64 s[16:17], vcc
	s_cbranch_execz .LBB68_24
; %bb.23:
	v_subrev_u32_e32 v4, 64, v14
	ds_read_b32 v4, v4
	s_waitcnt lgkmcnt(0)
	v_add_f32_e32 v2, v2, v4
.LBB68_24:
	s_or_b64 exec, exec, s[16:17]
.LBB68_25:
	s_or_b64 exec, exec, s[14:15]
	v_cmp_lt_u32_e64 s[14:15], 31, v0
	s_barrier
	ds_write_b32 v14, v2
	s_waitcnt lgkmcnt(0)
	s_barrier
	s_and_saveexec_b64 s[16:17], s[14:15]
	s_cbranch_execz .LBB68_29
; %bb.26:
	v_add_u32_e32 v4, 0xffffff80, v13
	ds_read_b32 v4, v4
	s_waitcnt lgkmcnt(0)
	v_cmp_eq_u32_e32 vcc, v3, v4
	s_and_saveexec_b64 s[18:19], vcc
	s_cbranch_execz .LBB68_28
; %bb.27:
	v_add_u32_e32 v4, 0xffffff80, v14
	ds_read_b32 v4, v4
	s_waitcnt lgkmcnt(0)
	v_add_f32_e32 v2, v2, v4
.LBB68_28:
	s_or_b64 exec, exec, s[18:19]
.LBB68_29:
	s_or_b64 exec, exec, s[16:17]
	v_cmp_lt_u32_e64 s[16:17], 63, v0
	s_barrier
	ds_write_b32 v14, v2
	s_waitcnt lgkmcnt(0)
	s_barrier
	s_and_saveexec_b64 s[18:19], s[16:17]
	s_cbranch_execz .LBB68_33
; %bb.30:
	v_add_u32_e32 v4, 0xffffff00, v13
	ds_read_b32 v4, v4
	s_waitcnt lgkmcnt(0)
	v_cmp_eq_u32_e32 vcc, v3, v4
	s_and_saveexec_b64 s[20:21], vcc
	s_cbranch_execz .LBB68_32
; %bb.31:
	v_add_u32_e32 v4, 0xffffff00, v14
	ds_read_b32 v4, v4
	s_waitcnt lgkmcnt(0)
	v_add_f32_e32 v2, v2, v4
.LBB68_32:
	s_or_b64 exec, exec, s[20:21]
.LBB68_33:
	s_or_b64 exec, exec, s[18:19]
	s_load_dwordx2 s[44:45], s[4:5], 0x38
	s_movk_i32 s7, 0x7f
	v_cmp_lt_u32_e64 s[18:19], s7, v0
	s_waitcnt lgkmcnt(0)
	s_barrier
	ds_write_b32 v14, v2
	s_waitcnt lgkmcnt(0)
	s_barrier
	s_and_saveexec_b64 s[20:21], s[18:19]
	s_cbranch_execz .LBB68_37
; %bb.34:
	v_add_u32_e32 v4, 0xfffffe00, v13
	ds_read_b32 v4, v4
	s_waitcnt lgkmcnt(0)
	v_cmp_eq_u32_e32 vcc, v3, v4
	s_and_saveexec_b64 s[24:25], vcc
	s_cbranch_execz .LBB68_36
; %bb.35:
	v_add_u32_e32 v4, 0xfffffe00, v14
	ds_read_b32 v4, v4
	s_waitcnt lgkmcnt(0)
	v_add_f32_e32 v2, v2, v4
.LBB68_36:
	s_or_b64 exec, exec, s[24:25]
.LBB68_37:
	s_or_b64 exec, exec, s[20:21]
	s_movk_i32 s7, 0xff
	v_cmp_gt_u32_e64 s[20:21], s7, v0
	s_barrier
	ds_write_b32 v14, v2
	s_waitcnt lgkmcnt(0)
	s_barrier
	s_and_saveexec_b64 s[26:27], s[20:21]
	s_cbranch_execz .LBB68_40
; %bb.38:
	ds_read_b32 v4, v13 offset:4
	v_cmp_lt_i32_e64 s[24:25], -1, v3
	s_waitcnt lgkmcnt(0)
	v_cmp_ne_u32_e32 vcc, v3, v4
	s_and_b64 s[24:25], s[24:25], vcc
	s_and_b64 exec, exec, s[24:25]
	s_cbranch_execz .LBB68_40
; %bb.39:
	v_mov_b32_e32 v4, 0
	v_lshlrev_b64 v[9:10], 2, v[3:4]
	v_mov_b32_e32 v4, s45
	v_add_co_u32_e32 v9, vcc, s44, v9
	v_addc_co_u32_e32 v10, vcc, v4, v10, vcc
	global_load_dword v4, v[9:10], off
	s_waitcnt vmcnt(0)
	v_fmac_f32_e32 v4, s28, v2
	global_store_dword v[9:10], v4, off
.LBB68_40:
	s_or_b64 exec, exec, s[26:27]
	s_load_dwordx4 s[24:27], s[4:5], 0x40
	s_cmp_lt_i32 s33, 2
	s_cbranch_scc1 .LBB68_87
; %bb.41:
	s_ashr_i32 s31, s30, 31
	s_lshl_b64 s[4:5], s[30:31], 1
	s_sub_u32 s7, s42, s4
	s_movk_i32 s4, 0x400
	v_add_co_u32_e32 v2, vcc, s4, v5
	v_addc_co_u32_e32 v3, vcc, 0, v6, vcc
	v_mov_b32_e32 v4, s39
	v_add_co_u32_e32 v5, vcc, s38, v2
	v_addc_co_u32_e32 v6, vcc, v4, v3, vcc
	v_mov_b32_e32 v4, s41
	;; [unrolled: 3-line block ×3, first 2 shown]
	v_add_co_u32_e32 v7, vcc, s36, v2
	v_addc_co_u32_e32 v8, vcc, v8, v3, vcc
	s_movk_i32 s4, 0x200
	v_add_co_u32_e32 v9, vcc, s4, v9
	v_addc_co_u32_e32 v10, vcc, 0, v4, vcc
	s_movk_i32 s4, 0x100
	v_add_co_u32_e32 v11, vcc, s4, v1
	s_subb_u32 s29, s43, s5
	v_subrev_u32_e32 v20, 32, v14
	v_subrev_u32_e32 v21, 64, v14
	v_add_u32_e32 v22, 0xffffff80, v13
	v_add_u32_e32 v23, 0xffffff80, v14
	;; [unrolled: 1-line block ×5, first 2 shown]
	v_addc_co_u32_e64 v12, s[4:5], 0, 0, vcc
	s_add_i32 s31, s33, -1
	s_mov_b32 s37, 0
	v_add_u32_e32 v1, 0xfffffe00, v14
	v_mov_b32_e32 v4, 0
	s_branch .LBB68_43
.LBB68_42:                              ;   in Loop: Header=BB68_43 Depth=1
	s_or_b64 exec, exec, s[38:39]
	v_add_co_u32_e32 v5, vcc, 0x400, v5
	v_addc_co_u32_e32 v6, vcc, 0, v6, vcc
	v_add_co_u32_e32 v9, vcc, 0x200, v9
	v_addc_co_u32_e32 v10, vcc, 0, v10, vcc
	v_add_co_u32_e32 v7, vcc, 0x400, v7
	v_addc_co_u32_e32 v8, vcc, 0, v8, vcc
	v_add_co_u32_e32 v11, vcc, 0x100, v11
	s_add_i32 s31, s31, -1
	s_cmp_eq_u32 s31, 0
	v_addc_co_u32_e32 v12, vcc, 0, v12, vcc
	s_cbranch_scc1 .LBB68_87
.LBB68_43:                              ; =>This Inner Loop Header: Depth=1
	v_cmp_gt_i64_e32 vcc, s[34:35], v[11:12]
	v_mov_b32_e32 v3, -1
	v_mov_b32_e32 v2, 0
	s_and_saveexec_b64 s[4:5], vcc
	s_cbranch_execz .LBB68_45
; %bb.44:                               ;   in Loop: Header=BB68_43 Depth=1
	global_load_dword v2, v[5:6], off glc slc
	global_load_dword v27, v[7:8], off glc slc
	global_load_ushort v28, v[9:10], off
	v_mov_b32_e32 v29, s29
	s_waitcnt vmcnt(2)
	v_ashrrev_i32_e32 v3, 31, v2
	v_lshlrev_b64 v[2:3], 1, v[2:3]
	v_add_co_u32_e32 v2, vcc, s7, v2
	v_addc_co_u32_e32 v3, vcc, v29, v3, vcc
	global_load_ushort v2, v[2:3], off
	s_waitcnt vmcnt(2)
	v_subrev_u32_e32 v3, s30, v27
	s_waitcnt vmcnt(1)
	v_lshlrev_b32_e32 v27, 16, v28
	s_waitcnt vmcnt(0)
	v_lshlrev_b32_e32 v2, 16, v2
	v_mul_f32_e32 v2, v27, v2
.LBB68_45:                              ;   in Loop: Header=BB68_43 Depth=1
	s_or_b64 exec, exec, s[4:5]
	s_and_saveexec_b64 s[4:5], s[0:1]
	s_cbranch_execz .LBB68_52
; %bb.46:                               ;   in Loop: Header=BB68_43 Depth=1
	ds_read_b32 v27, v4 offset:1020
	s_waitcnt lgkmcnt(0)
	v_readfirstlane_b32 s36, v27
	v_cmp_ne_u32_e32 vcc, v3, v27
	s_and_saveexec_b64 s[38:39], vcc
	s_xor_b64 s[38:39], exec, s[38:39]
	s_cbranch_execz .LBB68_49
; %bb.47:                               ;   in Loop: Header=BB68_43 Depth=1
	s_cmp_lt_i32 s36, 0
	s_cbranch_scc1 .LBB68_49
; %bb.48:                               ;   in Loop: Header=BB68_43 Depth=1
	s_lshl_b64 s[40:41], s[36:37], 2
	s_add_u32 s40, s44, s40
	s_addc_u32 s41, s45, s41
	global_load_dword v27, v4, s[40:41]
	ds_read_b32 v28, v4 offset:2044
	s_waitcnt vmcnt(0) lgkmcnt(0)
	v_fmac_f32_e32 v27, s28, v28
	global_store_dword v4, v27, s[40:41]
.LBB68_49:                              ;   in Loop: Header=BB68_43 Depth=1
	s_andn2_saveexec_b64 s[38:39], s[38:39]
	s_cbranch_execz .LBB68_51
; %bb.50:                               ;   in Loop: Header=BB68_43 Depth=1
	ds_read_b32 v27, v4 offset:2044
	s_waitcnt lgkmcnt(0)
	v_add_f32_e32 v2, v2, v27
.LBB68_51:                              ;   in Loop: Header=BB68_43 Depth=1
	s_or_b64 exec, exec, s[38:39]
.LBB68_52:                              ;   in Loop: Header=BB68_43 Depth=1
	s_or_b64 exec, exec, s[4:5]
	s_waitcnt vmcnt(0) lgkmcnt(0)
	s_barrier
	ds_write_b32 v13, v3
	ds_write_b32 v14, v2
	s_waitcnt lgkmcnt(0)
	s_barrier
	s_and_saveexec_b64 s[4:5], s[2:3]
	s_cbranch_execz .LBB68_56
; %bb.53:                               ;   in Loop: Header=BB68_43 Depth=1
	ds_read_b32 v27, v15
	s_waitcnt lgkmcnt(0)
	v_cmp_eq_u32_e32 vcc, v3, v27
	s_and_saveexec_b64 s[38:39], vcc
	s_cbranch_execz .LBB68_55
; %bb.54:                               ;   in Loop: Header=BB68_43 Depth=1
	v_add_u32_e32 v27, -4, v14
	ds_read_b32 v27, v27
	s_waitcnt lgkmcnt(0)
	v_add_f32_e32 v2, v2, v27
.LBB68_55:                              ;   in Loop: Header=BB68_43 Depth=1
	s_or_b64 exec, exec, s[38:39]
.LBB68_56:                              ;   in Loop: Header=BB68_43 Depth=1
	s_or_b64 exec, exec, s[4:5]
	s_barrier
	ds_write_b32 v14, v2
	s_waitcnt lgkmcnt(0)
	s_barrier
	s_and_saveexec_b64 s[4:5], s[22:23]
	s_cbranch_execz .LBB68_60
; %bb.57:                               ;   in Loop: Header=BB68_43 Depth=1
	ds_read_b32 v27, v16
	s_waitcnt lgkmcnt(0)
	v_cmp_eq_u32_e32 vcc, v3, v27
	s_and_saveexec_b64 s[38:39], vcc
	s_cbranch_execz .LBB68_59
; %bb.58:                               ;   in Loop: Header=BB68_43 Depth=1
	v_add_u32_e32 v27, -8, v14
	ds_read_b32 v27, v27
	s_waitcnt lgkmcnt(0)
	v_add_f32_e32 v2, v2, v27
.LBB68_59:                              ;   in Loop: Header=BB68_43 Depth=1
	s_or_b64 exec, exec, s[38:39]
.LBB68_60:                              ;   in Loop: Header=BB68_43 Depth=1
	s_or_b64 exec, exec, s[4:5]
	s_barrier
	;; [unrolled: 21-line block ×3, first 2 shown]
	ds_write_b32 v14, v2
	s_waitcnt lgkmcnt(0)
	s_barrier
	s_and_saveexec_b64 s[4:5], s[10:11]
	s_cbranch_execz .LBB68_68
; %bb.65:                               ;   in Loop: Header=BB68_43 Depth=1
	ds_read_b32 v27, v18
	s_waitcnt lgkmcnt(0)
	v_cmp_eq_u32_e32 vcc, v3, v27
	s_and_saveexec_b64 s[38:39], vcc
	s_cbranch_execz .LBB68_67
; %bb.66:                               ;   in Loop: Header=BB68_43 Depth=1
	ds_read_b32 v27, v20
	s_waitcnt lgkmcnt(0)
	v_add_f32_e32 v2, v2, v27
.LBB68_67:                              ;   in Loop: Header=BB68_43 Depth=1
	s_or_b64 exec, exec, s[38:39]
.LBB68_68:                              ;   in Loop: Header=BB68_43 Depth=1
	s_or_b64 exec, exec, s[4:5]
	s_barrier
	ds_write_b32 v14, v2
	s_waitcnt lgkmcnt(0)
	s_barrier
	s_and_saveexec_b64 s[4:5], s[12:13]
	s_cbranch_execz .LBB68_72
; %bb.69:                               ;   in Loop: Header=BB68_43 Depth=1
	ds_read_b32 v27, v19
	s_waitcnt lgkmcnt(0)
	v_cmp_eq_u32_e32 vcc, v3, v27
	s_and_saveexec_b64 s[38:39], vcc
	s_cbranch_execz .LBB68_71
; %bb.70:                               ;   in Loop: Header=BB68_43 Depth=1
	ds_read_b32 v27, v21
	s_waitcnt lgkmcnt(0)
	v_add_f32_e32 v2, v2, v27
.LBB68_71:                              ;   in Loop: Header=BB68_43 Depth=1
	s_or_b64 exec, exec, s[38:39]
.LBB68_72:                              ;   in Loop: Header=BB68_43 Depth=1
	s_or_b64 exec, exec, s[4:5]
	s_barrier
	;; [unrolled: 20-line block ×5, first 2 shown]
	ds_write_b32 v14, v2
	s_waitcnt lgkmcnt(0)
	s_barrier
	s_and_saveexec_b64 s[38:39], s[20:21]
	s_cbranch_execz .LBB68_42
; %bb.85:                               ;   in Loop: Header=BB68_43 Depth=1
	ds_read_b32 v27, v13 offset:4
	v_cmp_lt_i32_e64 s[4:5], -1, v3
	s_waitcnt lgkmcnt(0)
	v_cmp_ne_u32_e32 vcc, v3, v27
	s_and_b64 s[4:5], s[4:5], vcc
	s_and_b64 exec, exec, s[4:5]
	s_cbranch_execz .LBB68_42
; %bb.86:                               ;   in Loop: Header=BB68_43 Depth=1
	v_lshlrev_b64 v[27:28], 2, v[3:4]
	v_mov_b32_e32 v29, s45
	v_add_co_u32_e32 v27, vcc, s44, v27
	v_addc_co_u32_e32 v28, vcc, v29, v28, vcc
	global_load_dword v29, v[27:28], off
	s_waitcnt vmcnt(0)
	v_fmac_f32_e32 v29, s28, v2
	global_store_dword v[27:28], v29, off
	s_branch .LBB68_42
.LBB68_87:
	s_movk_i32 s0, 0xff
	v_cmp_eq_u32_e32 vcc, s0, v0
	s_and_saveexec_b64 s[0:1], vcc
	s_cbranch_execz .LBB68_89
; %bb.88:
	s_mov_b32 s7, 0
	s_lshl_b64 s[0:1], s[6:7], 2
	s_waitcnt lgkmcnt(0)
	s_add_u32 s2, s24, s0
	s_addc_u32 s3, s25, s1
	v_mov_b32_e32 v0, 0
	s_add_u32 s0, s26, s0
	v_mul_f32_e32 v1, s28, v2
	s_addc_u32 s1, s27, s1
	global_store_dword v0, v3, s[2:3] glc slc
	global_store_dword v0, v1, s[0:1] glc slc
.LBB68_89:
	s_endpgm
	.section	.rodata,"a",@progbits
	.p2align	6, 0x0
	.amdhsa_kernel _ZN9rocsparseL22coomvn_segmented_loopsILj256Ei18rocsparse_bfloat16S1_ffEEvlT0_NS_24const_host_device_scalarIT4_EEPKS2_S7_PKT1_PKT2_PT3_PS2_PS4_21rocsparse_index_base_b
		.amdhsa_group_segment_fixed_size 2048
		.amdhsa_private_segment_fixed_size 0
		.amdhsa_kernarg_size 88
		.amdhsa_user_sgpr_count 6
		.amdhsa_user_sgpr_private_segment_buffer 1
		.amdhsa_user_sgpr_dispatch_ptr 0
		.amdhsa_user_sgpr_queue_ptr 0
		.amdhsa_user_sgpr_kernarg_segment_ptr 1
		.amdhsa_user_sgpr_dispatch_id 0
		.amdhsa_user_sgpr_flat_scratch_init 0
		.amdhsa_user_sgpr_private_segment_size 0
		.amdhsa_uses_dynamic_stack 0
		.amdhsa_system_sgpr_private_segment_wavefront_offset 0
		.amdhsa_system_sgpr_workgroup_id_x 1
		.amdhsa_system_sgpr_workgroup_id_y 0
		.amdhsa_system_sgpr_workgroup_id_z 0
		.amdhsa_system_sgpr_workgroup_info 0
		.amdhsa_system_vgpr_workitem_id 0
		.amdhsa_next_free_vgpr 30
		.amdhsa_next_free_sgpr 46
		.amdhsa_reserve_vcc 1
		.amdhsa_reserve_flat_scratch 0
		.amdhsa_float_round_mode_32 0
		.amdhsa_float_round_mode_16_64 0
		.amdhsa_float_denorm_mode_32 3
		.amdhsa_float_denorm_mode_16_64 3
		.amdhsa_dx10_clamp 1
		.amdhsa_ieee_mode 1
		.amdhsa_fp16_overflow 0
		.amdhsa_exception_fp_ieee_invalid_op 0
		.amdhsa_exception_fp_denorm_src 0
		.amdhsa_exception_fp_ieee_div_zero 0
		.amdhsa_exception_fp_ieee_overflow 0
		.amdhsa_exception_fp_ieee_underflow 0
		.amdhsa_exception_fp_ieee_inexact 0
		.amdhsa_exception_int_div_zero 0
	.end_amdhsa_kernel
	.section	.text._ZN9rocsparseL22coomvn_segmented_loopsILj256Ei18rocsparse_bfloat16S1_ffEEvlT0_NS_24const_host_device_scalarIT4_EEPKS2_S7_PKT1_PKT2_PT3_PS2_PS4_21rocsparse_index_base_b,"axG",@progbits,_ZN9rocsparseL22coomvn_segmented_loopsILj256Ei18rocsparse_bfloat16S1_ffEEvlT0_NS_24const_host_device_scalarIT4_EEPKS2_S7_PKT1_PKT2_PT3_PS2_PS4_21rocsparse_index_base_b,comdat
.Lfunc_end68:
	.size	_ZN9rocsparseL22coomvn_segmented_loopsILj256Ei18rocsparse_bfloat16S1_ffEEvlT0_NS_24const_host_device_scalarIT4_EEPKS2_S7_PKT1_PKT2_PT3_PS2_PS4_21rocsparse_index_base_b, .Lfunc_end68-_ZN9rocsparseL22coomvn_segmented_loopsILj256Ei18rocsparse_bfloat16S1_ffEEvlT0_NS_24const_host_device_scalarIT4_EEPKS2_S7_PKT1_PKT2_PT3_PS2_PS4_21rocsparse_index_base_b
                                        ; -- End function
	.set _ZN9rocsparseL22coomvn_segmented_loopsILj256Ei18rocsparse_bfloat16S1_ffEEvlT0_NS_24const_host_device_scalarIT4_EEPKS2_S7_PKT1_PKT2_PT3_PS2_PS4_21rocsparse_index_base_b.num_vgpr, 30
	.set _ZN9rocsparseL22coomvn_segmented_loopsILj256Ei18rocsparse_bfloat16S1_ffEEvlT0_NS_24const_host_device_scalarIT4_EEPKS2_S7_PKT1_PKT2_PT3_PS2_PS4_21rocsparse_index_base_b.num_agpr, 0
	.set _ZN9rocsparseL22coomvn_segmented_loopsILj256Ei18rocsparse_bfloat16S1_ffEEvlT0_NS_24const_host_device_scalarIT4_EEPKS2_S7_PKT1_PKT2_PT3_PS2_PS4_21rocsparse_index_base_b.numbered_sgpr, 46
	.set _ZN9rocsparseL22coomvn_segmented_loopsILj256Ei18rocsparse_bfloat16S1_ffEEvlT0_NS_24const_host_device_scalarIT4_EEPKS2_S7_PKT1_PKT2_PT3_PS2_PS4_21rocsparse_index_base_b.num_named_barrier, 0
	.set _ZN9rocsparseL22coomvn_segmented_loopsILj256Ei18rocsparse_bfloat16S1_ffEEvlT0_NS_24const_host_device_scalarIT4_EEPKS2_S7_PKT1_PKT2_PT3_PS2_PS4_21rocsparse_index_base_b.private_seg_size, 0
	.set _ZN9rocsparseL22coomvn_segmented_loopsILj256Ei18rocsparse_bfloat16S1_ffEEvlT0_NS_24const_host_device_scalarIT4_EEPKS2_S7_PKT1_PKT2_PT3_PS2_PS4_21rocsparse_index_base_b.uses_vcc, 1
	.set _ZN9rocsparseL22coomvn_segmented_loopsILj256Ei18rocsparse_bfloat16S1_ffEEvlT0_NS_24const_host_device_scalarIT4_EEPKS2_S7_PKT1_PKT2_PT3_PS2_PS4_21rocsparse_index_base_b.uses_flat_scratch, 0
	.set _ZN9rocsparseL22coomvn_segmented_loopsILj256Ei18rocsparse_bfloat16S1_ffEEvlT0_NS_24const_host_device_scalarIT4_EEPKS2_S7_PKT1_PKT2_PT3_PS2_PS4_21rocsparse_index_base_b.has_dyn_sized_stack, 0
	.set _ZN9rocsparseL22coomvn_segmented_loopsILj256Ei18rocsparse_bfloat16S1_ffEEvlT0_NS_24const_host_device_scalarIT4_EEPKS2_S7_PKT1_PKT2_PT3_PS2_PS4_21rocsparse_index_base_b.has_recursion, 0
	.set _ZN9rocsparseL22coomvn_segmented_loopsILj256Ei18rocsparse_bfloat16S1_ffEEvlT0_NS_24const_host_device_scalarIT4_EEPKS2_S7_PKT1_PKT2_PT3_PS2_PS4_21rocsparse_index_base_b.has_indirect_call, 0
	.section	.AMDGPU.csdata,"",@progbits
; Kernel info:
; codeLenInByte = 2500
; TotalNumSgprs: 50
; NumVgprs: 30
; ScratchSize: 0
; MemoryBound: 0
; FloatMode: 240
; IeeeMode: 1
; LDSByteSize: 2048 bytes/workgroup (compile time only)
; SGPRBlocks: 6
; VGPRBlocks: 7
; NumSGPRsForWavesPerEU: 50
; NumVGPRsForWavesPerEU: 30
; Occupancy: 8
; WaveLimiterHint : 1
; COMPUTE_PGM_RSRC2:SCRATCH_EN: 0
; COMPUTE_PGM_RSRC2:USER_SGPR: 6
; COMPUTE_PGM_RSRC2:TRAP_HANDLER: 0
; COMPUTE_PGM_RSRC2:TGID_X_EN: 1
; COMPUTE_PGM_RSRC2:TGID_Y_EN: 0
; COMPUTE_PGM_RSRC2:TGID_Z_EN: 0
; COMPUTE_PGM_RSRC2:TIDIG_COMP_CNT: 0
	.section	.text._ZN9rocsparseL13coomvt_kernelILj1024Ei18rocsparse_bfloat16S1_ffEEv20rocsparse_operation_lNS_24const_host_device_scalarIT4_EEPKT0_S8_PKT1_PKT2_PT3_21rocsparse_index_base_b,"axG",@progbits,_ZN9rocsparseL13coomvt_kernelILj1024Ei18rocsparse_bfloat16S1_ffEEv20rocsparse_operation_lNS_24const_host_device_scalarIT4_EEPKT0_S8_PKT1_PKT2_PT3_21rocsparse_index_base_b,comdat
	.globl	_ZN9rocsparseL13coomvt_kernelILj1024Ei18rocsparse_bfloat16S1_ffEEv20rocsparse_operation_lNS_24const_host_device_scalarIT4_EEPKT0_S8_PKT1_PKT2_PT3_21rocsparse_index_base_b ; -- Begin function _ZN9rocsparseL13coomvt_kernelILj1024Ei18rocsparse_bfloat16S1_ffEEv20rocsparse_operation_lNS_24const_host_device_scalarIT4_EEPKT0_S8_PKT1_PKT2_PT3_21rocsparse_index_base_b
	.p2align	8
	.type	_ZN9rocsparseL13coomvt_kernelILj1024Ei18rocsparse_bfloat16S1_ffEEv20rocsparse_operation_lNS_24const_host_device_scalarIT4_EEPKT0_S8_PKT1_PKT2_PT3_21rocsparse_index_base_b,@function
_ZN9rocsparseL13coomvt_kernelILj1024Ei18rocsparse_bfloat16S1_ffEEv20rocsparse_operation_lNS_24const_host_device_scalarIT4_EEPKT0_S8_PKT1_PKT2_PT3_21rocsparse_index_base_b: ; @_ZN9rocsparseL13coomvt_kernelILj1024Ei18rocsparse_bfloat16S1_ffEEv20rocsparse_operation_lNS_24const_host_device_scalarIT4_EEPKT0_S8_PKT1_PKT2_PT3_21rocsparse_index_base_b
; %bb.0:
	s_load_dwordx2 s[16:17], s[4:5], 0x40
	s_load_dwordx4 s[0:3], s[4:5], 0x8
	s_waitcnt lgkmcnt(0)
	s_bitcmp1_b32 s17, 0
	s_cselect_b64 s[8:9], -1, 0
	s_and_b64 vcc, exec, s[8:9]
	s_cbranch_vccnz .LBB69_2
; %bb.1:
	s_load_dword s2, s[2:3], 0x0
.LBB69_2:
	s_waitcnt lgkmcnt(0)
	v_cmp_eq_f32_e64 s[8:9], s2, 0
	s_and_b64 vcc, exec, s[8:9]
	s_cbranch_vccnz .LBB69_6
; %bb.3:
	s_load_dword s3, s[4:5], 0x54
	v_mov_b32_e32 v1, 0
	s_waitcnt lgkmcnt(0)
	s_and_b32 s3, s3, 0xffff
	s_mul_i32 s6, s6, s3
	v_add_u32_e32 v0, s6, v0
	v_cmp_gt_i64_e32 vcc, s[0:1], v[0:1]
	s_and_saveexec_b64 s[0:1], vcc
	s_cbranch_execz .LBB69_6
; %bb.4:
	s_load_dwordx8 s[8:15], s[4:5], 0x18
	v_lshlrev_b64 v[2:3], 2, v[0:1]
	v_lshlrev_b64 v[0:1], 1, v[0:1]
	s_load_dwordx2 s[0:1], s[4:5], 0x38
	s_waitcnt lgkmcnt(0)
	v_mov_b32_e32 v5, s9
	v_add_co_u32_e32 v4, vcc, s8, v2
	v_addc_co_u32_e32 v5, vcc, v5, v3, vcc
	global_load_dword v4, v[4:5], off
	v_mov_b32_e32 v5, s11
	v_add_co_u32_e32 v2, vcc, s10, v2
	v_addc_co_u32_e32 v3, vcc, v5, v3, vcc
	global_load_dword v2, v[2:3], off
	v_mov_b32_e32 v3, s13
	v_add_co_u32_e32 v0, vcc, s12, v0
	v_addc_co_u32_e32 v1, vcc, v3, v1, vcc
	global_load_ushort v7, v[0:1], off
	v_mov_b32_e32 v6, s15
	v_mov_b32_e32 v5, s1
	s_waitcnt vmcnt(2)
	v_subrev_u32_e32 v0, s16, v4
	v_ashrrev_i32_e32 v1, 31, v0
	v_lshlrev_b64 v[0:1], 1, v[0:1]
	v_add_co_u32_e32 v0, vcc, s14, v0
	s_waitcnt vmcnt(1)
	v_subrev_u32_e32 v2, s16, v2
	v_ashrrev_i32_e32 v3, 31, v2
	v_lshlrev_b64 v[2:3], 2, v[2:3]
	v_addc_co_u32_e32 v1, vcc, v6, v1, vcc
	global_load_ushort v4, v[0:1], off
	v_add_co_u32_e32 v0, vcc, s0, v2
	v_addc_co_u32_e32 v1, vcc, v5, v3, vcc
	global_load_dword v3, v[0:1], off
	s_waitcnt vmcnt(2)
	v_lshlrev_b32_e32 v2, 16, v7
	v_mul_f32_e32 v2, s2, v2
	s_mov_b64 s[0:1], 0
	s_waitcnt vmcnt(1)
	v_lshlrev_b32_e32 v4, 16, v4
	v_mul_f32_e32 v4, v2, v4
.LBB69_5:                               ; =>This Inner Loop Header: Depth=1
	s_waitcnt vmcnt(0)
	v_add_f32_e32 v2, v3, v4
	global_atomic_cmpswap v2, v[0:1], v[2:3], off glc
	s_waitcnt vmcnt(0)
	v_cmp_eq_u32_e32 vcc, v2, v3
	s_or_b64 s[0:1], vcc, s[0:1]
	v_mov_b32_e32 v3, v2
	s_andn2_b64 exec, exec, s[0:1]
	s_cbranch_execnz .LBB69_5
.LBB69_6:
	s_endpgm
	.section	.rodata,"a",@progbits
	.p2align	6, 0x0
	.amdhsa_kernel _ZN9rocsparseL13coomvt_kernelILj1024Ei18rocsparse_bfloat16S1_ffEEv20rocsparse_operation_lNS_24const_host_device_scalarIT4_EEPKT0_S8_PKT1_PKT2_PT3_21rocsparse_index_base_b
		.amdhsa_group_segment_fixed_size 0
		.amdhsa_private_segment_fixed_size 0
		.amdhsa_kernarg_size 328
		.amdhsa_user_sgpr_count 6
		.amdhsa_user_sgpr_private_segment_buffer 1
		.amdhsa_user_sgpr_dispatch_ptr 0
		.amdhsa_user_sgpr_queue_ptr 0
		.amdhsa_user_sgpr_kernarg_segment_ptr 1
		.amdhsa_user_sgpr_dispatch_id 0
		.amdhsa_user_sgpr_flat_scratch_init 0
		.amdhsa_user_sgpr_private_segment_size 0
		.amdhsa_uses_dynamic_stack 0
		.amdhsa_system_sgpr_private_segment_wavefront_offset 0
		.amdhsa_system_sgpr_workgroup_id_x 1
		.amdhsa_system_sgpr_workgroup_id_y 0
		.amdhsa_system_sgpr_workgroup_id_z 0
		.amdhsa_system_sgpr_workgroup_info 0
		.amdhsa_system_vgpr_workitem_id 0
		.amdhsa_next_free_vgpr 8
		.amdhsa_next_free_sgpr 18
		.amdhsa_reserve_vcc 1
		.amdhsa_reserve_flat_scratch 0
		.amdhsa_float_round_mode_32 0
		.amdhsa_float_round_mode_16_64 0
		.amdhsa_float_denorm_mode_32 3
		.amdhsa_float_denorm_mode_16_64 3
		.amdhsa_dx10_clamp 1
		.amdhsa_ieee_mode 1
		.amdhsa_fp16_overflow 0
		.amdhsa_exception_fp_ieee_invalid_op 0
		.amdhsa_exception_fp_denorm_src 0
		.amdhsa_exception_fp_ieee_div_zero 0
		.amdhsa_exception_fp_ieee_overflow 0
		.amdhsa_exception_fp_ieee_underflow 0
		.amdhsa_exception_fp_ieee_inexact 0
		.amdhsa_exception_int_div_zero 0
	.end_amdhsa_kernel
	.section	.text._ZN9rocsparseL13coomvt_kernelILj1024Ei18rocsparse_bfloat16S1_ffEEv20rocsparse_operation_lNS_24const_host_device_scalarIT4_EEPKT0_S8_PKT1_PKT2_PT3_21rocsparse_index_base_b,"axG",@progbits,_ZN9rocsparseL13coomvt_kernelILj1024Ei18rocsparse_bfloat16S1_ffEEv20rocsparse_operation_lNS_24const_host_device_scalarIT4_EEPKT0_S8_PKT1_PKT2_PT3_21rocsparse_index_base_b,comdat
.Lfunc_end69:
	.size	_ZN9rocsparseL13coomvt_kernelILj1024Ei18rocsparse_bfloat16S1_ffEEv20rocsparse_operation_lNS_24const_host_device_scalarIT4_EEPKT0_S8_PKT1_PKT2_PT3_21rocsparse_index_base_b, .Lfunc_end69-_ZN9rocsparseL13coomvt_kernelILj1024Ei18rocsparse_bfloat16S1_ffEEv20rocsparse_operation_lNS_24const_host_device_scalarIT4_EEPKT0_S8_PKT1_PKT2_PT3_21rocsparse_index_base_b
                                        ; -- End function
	.set _ZN9rocsparseL13coomvt_kernelILj1024Ei18rocsparse_bfloat16S1_ffEEv20rocsparse_operation_lNS_24const_host_device_scalarIT4_EEPKT0_S8_PKT1_PKT2_PT3_21rocsparse_index_base_b.num_vgpr, 8
	.set _ZN9rocsparseL13coomvt_kernelILj1024Ei18rocsparse_bfloat16S1_ffEEv20rocsparse_operation_lNS_24const_host_device_scalarIT4_EEPKT0_S8_PKT1_PKT2_PT3_21rocsparse_index_base_b.num_agpr, 0
	.set _ZN9rocsparseL13coomvt_kernelILj1024Ei18rocsparse_bfloat16S1_ffEEv20rocsparse_operation_lNS_24const_host_device_scalarIT4_EEPKT0_S8_PKT1_PKT2_PT3_21rocsparse_index_base_b.numbered_sgpr, 18
	.set _ZN9rocsparseL13coomvt_kernelILj1024Ei18rocsparse_bfloat16S1_ffEEv20rocsparse_operation_lNS_24const_host_device_scalarIT4_EEPKT0_S8_PKT1_PKT2_PT3_21rocsparse_index_base_b.num_named_barrier, 0
	.set _ZN9rocsparseL13coomvt_kernelILj1024Ei18rocsparse_bfloat16S1_ffEEv20rocsparse_operation_lNS_24const_host_device_scalarIT4_EEPKT0_S8_PKT1_PKT2_PT3_21rocsparse_index_base_b.private_seg_size, 0
	.set _ZN9rocsparseL13coomvt_kernelILj1024Ei18rocsparse_bfloat16S1_ffEEv20rocsparse_operation_lNS_24const_host_device_scalarIT4_EEPKT0_S8_PKT1_PKT2_PT3_21rocsparse_index_base_b.uses_vcc, 1
	.set _ZN9rocsparseL13coomvt_kernelILj1024Ei18rocsparse_bfloat16S1_ffEEv20rocsparse_operation_lNS_24const_host_device_scalarIT4_EEPKT0_S8_PKT1_PKT2_PT3_21rocsparse_index_base_b.uses_flat_scratch, 0
	.set _ZN9rocsparseL13coomvt_kernelILj1024Ei18rocsparse_bfloat16S1_ffEEv20rocsparse_operation_lNS_24const_host_device_scalarIT4_EEPKT0_S8_PKT1_PKT2_PT3_21rocsparse_index_base_b.has_dyn_sized_stack, 0
	.set _ZN9rocsparseL13coomvt_kernelILj1024Ei18rocsparse_bfloat16S1_ffEEv20rocsparse_operation_lNS_24const_host_device_scalarIT4_EEPKT0_S8_PKT1_PKT2_PT3_21rocsparse_index_base_b.has_recursion, 0
	.set _ZN9rocsparseL13coomvt_kernelILj1024Ei18rocsparse_bfloat16S1_ffEEv20rocsparse_operation_lNS_24const_host_device_scalarIT4_EEPKT0_S8_PKT1_PKT2_PT3_21rocsparse_index_base_b.has_indirect_call, 0
	.section	.AMDGPU.csdata,"",@progbits
; Kernel info:
; codeLenInByte = 356
; TotalNumSgprs: 22
; NumVgprs: 8
; ScratchSize: 0
; MemoryBound: 0
; FloatMode: 240
; IeeeMode: 1
; LDSByteSize: 0 bytes/workgroup (compile time only)
; SGPRBlocks: 2
; VGPRBlocks: 1
; NumSGPRsForWavesPerEU: 22
; NumVGPRsForWavesPerEU: 8
; Occupancy: 10
; WaveLimiterHint : 1
; COMPUTE_PGM_RSRC2:SCRATCH_EN: 0
; COMPUTE_PGM_RSRC2:USER_SGPR: 6
; COMPUTE_PGM_RSRC2:TRAP_HANDLER: 0
; COMPUTE_PGM_RSRC2:TGID_X_EN: 1
; COMPUTE_PGM_RSRC2:TGID_Y_EN: 0
; COMPUTE_PGM_RSRC2:TGID_Z_EN: 0
; COMPUTE_PGM_RSRC2:TIDIG_COMP_CNT: 0
	.section	.text._ZN9rocsparseL19coomvn_atomic_loopsILj256ELj1Ei18rocsparse_bfloat16S1_ffEEvlNS_24const_host_device_scalarIT5_EEPKT1_S7_PKT2_PKT3_PT4_21rocsparse_index_base_b,"axG",@progbits,_ZN9rocsparseL19coomvn_atomic_loopsILj256ELj1Ei18rocsparse_bfloat16S1_ffEEvlNS_24const_host_device_scalarIT5_EEPKT1_S7_PKT2_PKT3_PT4_21rocsparse_index_base_b,comdat
	.globl	_ZN9rocsparseL19coomvn_atomic_loopsILj256ELj1Ei18rocsparse_bfloat16S1_ffEEvlNS_24const_host_device_scalarIT5_EEPKT1_S7_PKT2_PKT3_PT4_21rocsparse_index_base_b ; -- Begin function _ZN9rocsparseL19coomvn_atomic_loopsILj256ELj1Ei18rocsparse_bfloat16S1_ffEEvlNS_24const_host_device_scalarIT5_EEPKT1_S7_PKT2_PKT3_PT4_21rocsparse_index_base_b
	.p2align	8
	.type	_ZN9rocsparseL19coomvn_atomic_loopsILj256ELj1Ei18rocsparse_bfloat16S1_ffEEvlNS_24const_host_device_scalarIT5_EEPKT1_S7_PKT2_PKT3_PT4_21rocsparse_index_base_b,@function
_ZN9rocsparseL19coomvn_atomic_loopsILj256ELj1Ei18rocsparse_bfloat16S1_ffEEvlNS_24const_host_device_scalarIT5_EEPKT1_S7_PKT2_PKT3_PT4_21rocsparse_index_base_b: ; @_ZN9rocsparseL19coomvn_atomic_loopsILj256ELj1Ei18rocsparse_bfloat16S1_ffEEvlNS_24const_host_device_scalarIT5_EEPKT1_S7_PKT2_PKT3_PT4_21rocsparse_index_base_b
; %bb.0:
	s_load_dwordx2 s[16:17], s[4:5], 0x38
	s_load_dwordx4 s[0:3], s[4:5], 0x0
	s_waitcnt lgkmcnt(0)
	s_bitcmp1_b32 s17, 0
	s_cselect_b64 s[8:9], -1, 0
	s_and_b64 vcc, exec, s[8:9]
	s_cbranch_vccnz .LBB70_2
; %bb.1:
	s_load_dword s2, s[2:3], 0x0
.LBB70_2:
	s_waitcnt lgkmcnt(0)
	v_cmp_eq_f32_e64 s[8:9], s2, 0
	s_and_b64 vcc, exec, s[8:9]
	s_cbranch_vccnz .LBB70_44
; %bb.3:
	v_lshl_or_b32 v1, s6, 8, v0
	v_mov_b32_e32 v2, 0
	v_cmp_gt_i64_e32 vcc, s[0:1], v[1:2]
	v_mov_b32_e32 v3, -1
	s_and_saveexec_b64 s[0:1], vcc
	s_cbranch_execz .LBB70_5
; %bb.4:
	s_load_dwordx8 s[8:15], s[4:5], 0x10
	v_lshlrev_b64 v[3:4], 2, v[1:2]
	v_lshlrev_b64 v[1:2], 1, v[1:2]
	s_waitcnt lgkmcnt(0)
	v_mov_b32_e32 v6, s11
	v_add_co_u32_e32 v5, vcc, s10, v3
	v_addc_co_u32_e32 v6, vcc, v6, v4, vcc
	global_load_dword v5, v[5:6], off glc slc
	v_mov_b32_e32 v6, s9
	v_add_co_u32_e32 v3, vcc, s8, v3
	v_addc_co_u32_e32 v4, vcc, v6, v4, vcc
	global_load_dword v6, v[3:4], off glc slc
	v_mov_b32_e32 v7, s13
	v_add_co_u32_e32 v1, vcc, s12, v1
	v_addc_co_u32_e32 v2, vcc, v7, v2, vcc
	v_mov_b32_e32 v8, s15
	s_waitcnt vmcnt(1)
	v_subrev_u32_e32 v3, s16, v5
	v_ashrrev_i32_e32 v4, 31, v3
	v_lshlrev_b64 v[3:4], 1, v[3:4]
	v_add_co_u32_e32 v3, vcc, s14, v3
	v_addc_co_u32_e32 v4, vcc, v8, v4, vcc
	global_load_ushort v5, v[3:4], off
	global_load_ushort v7, v[1:2], off
	s_waitcnt vmcnt(2)
	v_subrev_u32_e32 v3, s16, v6
	s_waitcnt vmcnt(1)
	v_lshlrev_b32_e32 v1, 16, v5
	s_waitcnt vmcnt(0)
	v_lshlrev_b32_e32 v2, 16, v7
	v_mul_f32_e32 v2, v2, v1
.LBB70_5:
	s_or_b64 exec, exec, s[0:1]
	v_lshlrev_b32_e32 v1, 2, v0
	v_or_b32_e32 v4, 0x400, v1
	v_cmp_ne_u32_e32 vcc, 0, v0
	ds_write2st64_b32 v1, v3, v2 offset1:4
	s_waitcnt lgkmcnt(0)
	s_barrier
	s_and_saveexec_b64 s[0:1], vcc
	s_cbranch_execz .LBB70_9
; %bb.6:
	v_add_u32_e32 v5, -4, v1
	ds_read_b32 v5, v5
	s_waitcnt lgkmcnt(0)
	v_cmp_eq_u32_e32 vcc, v3, v5
	s_and_saveexec_b64 s[6:7], vcc
	s_cbranch_execz .LBB70_8
; %bb.7:
	v_add_u32_e32 v5, -4, v4
	ds_read_b32 v5, v5
	s_waitcnt lgkmcnt(0)
	v_add_f32_e32 v2, v2, v5
.LBB70_8:
	s_or_b64 exec, exec, s[6:7]
.LBB70_9:
	s_or_b64 exec, exec, s[0:1]
	v_cmp_lt_u32_e32 vcc, 1, v0
	s_barrier
	ds_write_b32 v4, v2
	s_waitcnt lgkmcnt(0)
	s_barrier
	s_and_saveexec_b64 s[0:1], vcc
	s_cbranch_execz .LBB70_13
; %bb.10:
	v_add_u32_e32 v5, -8, v1
	ds_read_b32 v5, v5
	s_waitcnt lgkmcnt(0)
	v_cmp_eq_u32_e32 vcc, v3, v5
	s_and_saveexec_b64 s[6:7], vcc
	s_cbranch_execz .LBB70_12
; %bb.11:
	v_add_u32_e32 v5, -8, v4
	ds_read_b32 v5, v5
	s_waitcnt lgkmcnt(0)
	v_add_f32_e32 v2, v2, v5
.LBB70_12:
	s_or_b64 exec, exec, s[6:7]
.LBB70_13:
	s_or_b64 exec, exec, s[0:1]
	v_cmp_lt_u32_e32 vcc, 3, v0
	s_barrier
	ds_write_b32 v4, v2
	;; [unrolled: 23-line block ×3, first 2 shown]
	s_waitcnt lgkmcnt(0)
	s_barrier
	s_and_saveexec_b64 s[0:1], vcc
	s_cbranch_execz .LBB70_21
; %bb.18:
	v_subrev_u32_e32 v5, 32, v1
	ds_read_b32 v5, v5
	s_waitcnt lgkmcnt(0)
	v_cmp_eq_u32_e32 vcc, v3, v5
	s_and_saveexec_b64 s[6:7], vcc
	s_cbranch_execz .LBB70_20
; %bb.19:
	v_subrev_u32_e32 v5, 32, v4
	ds_read_b32 v5, v5
	s_waitcnt lgkmcnt(0)
	v_add_f32_e32 v2, v2, v5
.LBB70_20:
	s_or_b64 exec, exec, s[6:7]
.LBB70_21:
	s_or_b64 exec, exec, s[0:1]
	v_cmp_lt_u32_e32 vcc, 15, v0
	s_barrier
	ds_write_b32 v4, v2
	s_waitcnt lgkmcnt(0)
	s_barrier
	s_and_saveexec_b64 s[0:1], vcc
	s_cbranch_execz .LBB70_25
; %bb.22:
	v_subrev_u32_e32 v5, 64, v1
	ds_read_b32 v5, v5
	s_waitcnt lgkmcnt(0)
	v_cmp_eq_u32_e32 vcc, v3, v5
	s_and_saveexec_b64 s[6:7], vcc
	s_cbranch_execz .LBB70_24
; %bb.23:
	v_subrev_u32_e32 v5, 64, v4
	ds_read_b32 v5, v5
	s_waitcnt lgkmcnt(0)
	v_add_f32_e32 v2, v2, v5
.LBB70_24:
	s_or_b64 exec, exec, s[6:7]
.LBB70_25:
	s_or_b64 exec, exec, s[0:1]
	v_cmp_lt_u32_e32 vcc, 31, v0
	s_barrier
	ds_write_b32 v4, v2
	s_waitcnt lgkmcnt(0)
	s_barrier
	s_and_saveexec_b64 s[0:1], vcc
	s_cbranch_execz .LBB70_29
; %bb.26:
	v_add_u32_e32 v5, 0xffffff80, v1
	ds_read_b32 v5, v5
	s_waitcnt lgkmcnt(0)
	v_cmp_eq_u32_e32 vcc, v3, v5
	s_and_saveexec_b64 s[6:7], vcc
	s_cbranch_execz .LBB70_28
; %bb.27:
	v_add_u32_e32 v5, 0xffffff80, v4
	ds_read_b32 v5, v5
	s_waitcnt lgkmcnt(0)
	v_add_f32_e32 v2, v2, v5
.LBB70_28:
	s_or_b64 exec, exec, s[6:7]
.LBB70_29:
	s_or_b64 exec, exec, s[0:1]
	v_cmp_lt_u32_e32 vcc, 63, v0
	s_barrier
	ds_write_b32 v4, v2
	s_waitcnt lgkmcnt(0)
	s_barrier
	s_and_saveexec_b64 s[0:1], vcc
	s_cbranch_execz .LBB70_33
; %bb.30:
	v_add_u32_e32 v5, 0xffffff00, v1
	ds_read_b32 v5, v5
	s_waitcnt lgkmcnt(0)
	v_cmp_eq_u32_e32 vcc, v3, v5
	s_and_saveexec_b64 s[6:7], vcc
	s_cbranch_execz .LBB70_32
; %bb.31:
	v_add_u32_e32 v5, 0xffffff00, v4
	ds_read_b32 v5, v5
	s_waitcnt lgkmcnt(0)
	v_add_f32_e32 v2, v2, v5
.LBB70_32:
	s_or_b64 exec, exec, s[6:7]
.LBB70_33:
	s_or_b64 exec, exec, s[0:1]
	s_load_dwordx2 s[4:5], s[4:5], 0x30
	s_movk_i32 s0, 0x7f
	v_cmp_lt_u32_e32 vcc, s0, v0
	s_waitcnt lgkmcnt(0)
	s_barrier
	ds_write_b32 v4, v2
	s_waitcnt lgkmcnt(0)
	s_barrier
	s_and_saveexec_b64 s[0:1], vcc
	s_cbranch_execz .LBB70_37
; %bb.34:
	v_add_u32_e32 v5, 0xfffffe00, v1
	ds_read_b32 v5, v5
	s_waitcnt lgkmcnt(0)
	v_cmp_eq_u32_e32 vcc, v3, v5
	s_and_saveexec_b64 s[6:7], vcc
	s_cbranch_execz .LBB70_36
; %bb.35:
	v_add_u32_e32 v5, 0xfffffe00, v4
	ds_read_b32 v5, v5
	s_waitcnt lgkmcnt(0)
	v_add_f32_e32 v2, v2, v5
.LBB70_36:
	s_or_b64 exec, exec, s[6:7]
.LBB70_37:
	s_or_b64 exec, exec, s[0:1]
	s_movk_i32 s3, 0xff
	v_cmp_gt_u32_e32 vcc, s3, v0
	s_barrier
	ds_write_b32 v4, v2
	s_waitcnt lgkmcnt(0)
	s_barrier
	s_and_saveexec_b64 s[6:7], vcc
	s_cbranch_execz .LBB70_41
; %bb.38:
	ds_read_b32 v1, v1 offset:4
	v_cmp_lt_i32_e64 s[0:1], -1, v3
	s_waitcnt lgkmcnt(0)
	v_cmp_ne_u32_e32 vcc, v3, v1
	s_and_b64 s[0:1], s[0:1], vcc
	s_and_b64 exec, exec, s[0:1]
	s_cbranch_execz .LBB70_41
; %bb.39:
	v_mov_b32_e32 v4, 0
	v_lshlrev_b64 v[4:5], 2, v[3:4]
	v_mov_b32_e32 v1, s5
	v_add_co_u32_e32 v4, vcc, s4, v4
	v_addc_co_u32_e32 v5, vcc, v1, v5, vcc
	global_load_dword v7, v[4:5], off
	v_mul_f32_e32 v1, s2, v2
	s_mov_b64 s[0:1], 0
.LBB70_40:                              ; =>This Inner Loop Header: Depth=1
	s_waitcnt vmcnt(0)
	v_add_f32_e32 v6, v7, v1
	global_atomic_cmpswap v6, v[4:5], v[6:7], off glc
	s_waitcnt vmcnt(0)
	v_cmp_eq_u32_e32 vcc, v6, v7
	s_or_b64 s[0:1], vcc, s[0:1]
	v_mov_b32_e32 v7, v6
	s_andn2_b64 exec, exec, s[0:1]
	s_cbranch_execnz .LBB70_40
.LBB70_41:
	s_or_b64 exec, exec, s[6:7]
	v_cmp_eq_u32_e32 vcc, s3, v0
	v_cmp_lt_i32_e64 s[0:1], -1, v3
	s_and_b64 s[0:1], vcc, s[0:1]
	s_and_saveexec_b64 s[6:7], s[0:1]
	s_cbranch_execz .LBB70_44
; %bb.42:
	v_mov_b32_e32 v4, 0
	v_lshlrev_b64 v[0:1], 2, v[3:4]
	v_mov_b32_e32 v3, s5
	v_add_co_u32_e32 v0, vcc, s4, v0
	v_addc_co_u32_e32 v1, vcc, v3, v1, vcc
	global_load_dword v3, v[0:1], off
	v_mul_f32_e32 v4, s2, v2
	s_mov_b64 s[0:1], 0
.LBB70_43:                              ; =>This Inner Loop Header: Depth=1
	s_waitcnt vmcnt(0)
	v_add_f32_e32 v2, v3, v4
	global_atomic_cmpswap v2, v[0:1], v[2:3], off glc
	s_waitcnt vmcnt(0)
	v_cmp_eq_u32_e32 vcc, v2, v3
	s_or_b64 s[0:1], vcc, s[0:1]
	v_mov_b32_e32 v3, v2
	s_andn2_b64 exec, exec, s[0:1]
	s_cbranch_execnz .LBB70_43
.LBB70_44:
	s_endpgm
	.section	.rodata,"a",@progbits
	.p2align	6, 0x0
	.amdhsa_kernel _ZN9rocsparseL19coomvn_atomic_loopsILj256ELj1Ei18rocsparse_bfloat16S1_ffEEvlNS_24const_host_device_scalarIT5_EEPKT1_S7_PKT2_PKT3_PT4_21rocsparse_index_base_b
		.amdhsa_group_segment_fixed_size 2048
		.amdhsa_private_segment_fixed_size 0
		.amdhsa_kernarg_size 64
		.amdhsa_user_sgpr_count 6
		.amdhsa_user_sgpr_private_segment_buffer 1
		.amdhsa_user_sgpr_dispatch_ptr 0
		.amdhsa_user_sgpr_queue_ptr 0
		.amdhsa_user_sgpr_kernarg_segment_ptr 1
		.amdhsa_user_sgpr_dispatch_id 0
		.amdhsa_user_sgpr_flat_scratch_init 0
		.amdhsa_user_sgpr_private_segment_size 0
		.amdhsa_uses_dynamic_stack 0
		.amdhsa_system_sgpr_private_segment_wavefront_offset 0
		.amdhsa_system_sgpr_workgroup_id_x 1
		.amdhsa_system_sgpr_workgroup_id_y 0
		.amdhsa_system_sgpr_workgroup_id_z 0
		.amdhsa_system_sgpr_workgroup_info 0
		.amdhsa_system_vgpr_workitem_id 0
		.amdhsa_next_free_vgpr 9
		.amdhsa_next_free_sgpr 18
		.amdhsa_reserve_vcc 1
		.amdhsa_reserve_flat_scratch 0
		.amdhsa_float_round_mode_32 0
		.amdhsa_float_round_mode_16_64 0
		.amdhsa_float_denorm_mode_32 3
		.amdhsa_float_denorm_mode_16_64 3
		.amdhsa_dx10_clamp 1
		.amdhsa_ieee_mode 1
		.amdhsa_fp16_overflow 0
		.amdhsa_exception_fp_ieee_invalid_op 0
		.amdhsa_exception_fp_denorm_src 0
		.amdhsa_exception_fp_ieee_div_zero 0
		.amdhsa_exception_fp_ieee_overflow 0
		.amdhsa_exception_fp_ieee_underflow 0
		.amdhsa_exception_fp_ieee_inexact 0
		.amdhsa_exception_int_div_zero 0
	.end_amdhsa_kernel
	.section	.text._ZN9rocsparseL19coomvn_atomic_loopsILj256ELj1Ei18rocsparse_bfloat16S1_ffEEvlNS_24const_host_device_scalarIT5_EEPKT1_S7_PKT2_PKT3_PT4_21rocsparse_index_base_b,"axG",@progbits,_ZN9rocsparseL19coomvn_atomic_loopsILj256ELj1Ei18rocsparse_bfloat16S1_ffEEvlNS_24const_host_device_scalarIT5_EEPKT1_S7_PKT2_PKT3_PT4_21rocsparse_index_base_b,comdat
.Lfunc_end70:
	.size	_ZN9rocsparseL19coomvn_atomic_loopsILj256ELj1Ei18rocsparse_bfloat16S1_ffEEvlNS_24const_host_device_scalarIT5_EEPKT1_S7_PKT2_PKT3_PT4_21rocsparse_index_base_b, .Lfunc_end70-_ZN9rocsparseL19coomvn_atomic_loopsILj256ELj1Ei18rocsparse_bfloat16S1_ffEEvlNS_24const_host_device_scalarIT5_EEPKT1_S7_PKT2_PKT3_PT4_21rocsparse_index_base_b
                                        ; -- End function
	.set _ZN9rocsparseL19coomvn_atomic_loopsILj256ELj1Ei18rocsparse_bfloat16S1_ffEEvlNS_24const_host_device_scalarIT5_EEPKT1_S7_PKT2_PKT3_PT4_21rocsparse_index_base_b.num_vgpr, 9
	.set _ZN9rocsparseL19coomvn_atomic_loopsILj256ELj1Ei18rocsparse_bfloat16S1_ffEEvlNS_24const_host_device_scalarIT5_EEPKT1_S7_PKT2_PKT3_PT4_21rocsparse_index_base_b.num_agpr, 0
	.set _ZN9rocsparseL19coomvn_atomic_loopsILj256ELj1Ei18rocsparse_bfloat16S1_ffEEvlNS_24const_host_device_scalarIT5_EEPKT1_S7_PKT2_PKT3_PT4_21rocsparse_index_base_b.numbered_sgpr, 18
	.set _ZN9rocsparseL19coomvn_atomic_loopsILj256ELj1Ei18rocsparse_bfloat16S1_ffEEvlNS_24const_host_device_scalarIT5_EEPKT1_S7_PKT2_PKT3_PT4_21rocsparse_index_base_b.num_named_barrier, 0
	.set _ZN9rocsparseL19coomvn_atomic_loopsILj256ELj1Ei18rocsparse_bfloat16S1_ffEEvlNS_24const_host_device_scalarIT5_EEPKT1_S7_PKT2_PKT3_PT4_21rocsparse_index_base_b.private_seg_size, 0
	.set _ZN9rocsparseL19coomvn_atomic_loopsILj256ELj1Ei18rocsparse_bfloat16S1_ffEEvlNS_24const_host_device_scalarIT5_EEPKT1_S7_PKT2_PKT3_PT4_21rocsparse_index_base_b.uses_vcc, 1
	.set _ZN9rocsparseL19coomvn_atomic_loopsILj256ELj1Ei18rocsparse_bfloat16S1_ffEEvlNS_24const_host_device_scalarIT5_EEPKT1_S7_PKT2_PKT3_PT4_21rocsparse_index_base_b.uses_flat_scratch, 0
	.set _ZN9rocsparseL19coomvn_atomic_loopsILj256ELj1Ei18rocsparse_bfloat16S1_ffEEvlNS_24const_host_device_scalarIT5_EEPKT1_S7_PKT2_PKT3_PT4_21rocsparse_index_base_b.has_dyn_sized_stack, 0
	.set _ZN9rocsparseL19coomvn_atomic_loopsILj256ELj1Ei18rocsparse_bfloat16S1_ffEEvlNS_24const_host_device_scalarIT5_EEPKT1_S7_PKT2_PKT3_PT4_21rocsparse_index_base_b.has_recursion, 0
	.set _ZN9rocsparseL19coomvn_atomic_loopsILj256ELj1Ei18rocsparse_bfloat16S1_ffEEvlNS_24const_host_device_scalarIT5_EEPKT1_S7_PKT2_PKT3_PT4_21rocsparse_index_base_b.has_indirect_call, 0
	.section	.AMDGPU.csdata,"",@progbits
; Kernel info:
; codeLenInByte = 1268
; TotalNumSgprs: 22
; NumVgprs: 9
; ScratchSize: 0
; MemoryBound: 0
; FloatMode: 240
; IeeeMode: 1
; LDSByteSize: 2048 bytes/workgroup (compile time only)
; SGPRBlocks: 2
; VGPRBlocks: 2
; NumSGPRsForWavesPerEU: 22
; NumVGPRsForWavesPerEU: 9
; Occupancy: 10
; WaveLimiterHint : 1
; COMPUTE_PGM_RSRC2:SCRATCH_EN: 0
; COMPUTE_PGM_RSRC2:USER_SGPR: 6
; COMPUTE_PGM_RSRC2:TRAP_HANDLER: 0
; COMPUTE_PGM_RSRC2:TGID_X_EN: 1
; COMPUTE_PGM_RSRC2:TGID_Y_EN: 0
; COMPUTE_PGM_RSRC2:TGID_Z_EN: 0
; COMPUTE_PGM_RSRC2:TIDIG_COMP_CNT: 0
	.section	.text._ZN9rocsparseL19coomvn_atomic_loopsILj256ELj2Ei18rocsparse_bfloat16S1_ffEEvlNS_24const_host_device_scalarIT5_EEPKT1_S7_PKT2_PKT3_PT4_21rocsparse_index_base_b,"axG",@progbits,_ZN9rocsparseL19coomvn_atomic_loopsILj256ELj2Ei18rocsparse_bfloat16S1_ffEEvlNS_24const_host_device_scalarIT5_EEPKT1_S7_PKT2_PKT3_PT4_21rocsparse_index_base_b,comdat
	.globl	_ZN9rocsparseL19coomvn_atomic_loopsILj256ELj2Ei18rocsparse_bfloat16S1_ffEEvlNS_24const_host_device_scalarIT5_EEPKT1_S7_PKT2_PKT3_PT4_21rocsparse_index_base_b ; -- Begin function _ZN9rocsparseL19coomvn_atomic_loopsILj256ELj2Ei18rocsparse_bfloat16S1_ffEEvlNS_24const_host_device_scalarIT5_EEPKT1_S7_PKT2_PKT3_PT4_21rocsparse_index_base_b
	.p2align	8
	.type	_ZN9rocsparseL19coomvn_atomic_loopsILj256ELj2Ei18rocsparse_bfloat16S1_ffEEvlNS_24const_host_device_scalarIT5_EEPKT1_S7_PKT2_PKT3_PT4_21rocsparse_index_base_b,@function
_ZN9rocsparseL19coomvn_atomic_loopsILj256ELj2Ei18rocsparse_bfloat16S1_ffEEvlNS_24const_host_device_scalarIT5_EEPKT1_S7_PKT2_PKT3_PT4_21rocsparse_index_base_b: ; @_ZN9rocsparseL19coomvn_atomic_loopsILj256ELj2Ei18rocsparse_bfloat16S1_ffEEvlNS_24const_host_device_scalarIT5_EEPKT1_S7_PKT2_PKT3_PT4_21rocsparse_index_base_b
; %bb.0:
	s_load_dwordx2 s[34:35], s[4:5], 0x38
	s_load_dwordx4 s[36:39], s[4:5], 0x0
	s_waitcnt lgkmcnt(0)
	s_bitcmp1_b32 s35, 0
	s_cselect_b64 s[0:1], -1, 0
	s_and_b64 vcc, exec, s[0:1]
	s_cbranch_vccnz .LBB71_2
; %bb.1:
	s_load_dword s38, s[38:39], 0x0
.LBB71_2:
	s_waitcnt lgkmcnt(0)
	v_cmp_eq_f32_e64 s[0:1], s38, 0
	s_and_b64 vcc, exec, s[0:1]
	s_cbranch_vccnz .LBB71_92
; %bb.3:
	s_load_dwordx8 s[24:31], s[4:5], 0x10
	v_lshl_or_b32 v5, s6, 9, v0
	v_mov_b32_e32 v6, 0
	v_cmp_gt_i64_e32 vcc, s[36:37], v[5:6]
	v_lshlrev_b64 v[3:4], 2, v[5:6]
	v_lshlrev_b64 v[1:2], 1, v[5:6]
	v_mov_b32_e32 v7, -1
	s_and_saveexec_b64 s[0:1], vcc
	s_cbranch_execz .LBB71_5
; %bb.4:
	s_waitcnt lgkmcnt(0)
	v_mov_b32_e32 v7, s27
	v_add_co_u32_e32 v6, vcc, s26, v3
	v_addc_co_u32_e32 v7, vcc, v7, v4, vcc
	global_load_dword v10, v[6:7], off glc slc
	v_mov_b32_e32 v7, s25
	v_add_co_u32_e32 v6, vcc, s24, v3
	v_addc_co_u32_e32 v7, vcc, v7, v4, vcc
	global_load_dword v12, v[6:7], off glc slc
	v_mov_b32_e32 v9, s29
	v_add_co_u32_e32 v8, vcc, s28, v1
	v_addc_co_u32_e32 v9, vcc, v9, v2, vcc
	v_mov_b32_e32 v11, s31
	s_waitcnt vmcnt(1)
	v_subrev_u32_e32 v6, s34, v10
	v_ashrrev_i32_e32 v7, 31, v6
	v_lshlrev_b64 v[6:7], 1, v[6:7]
	v_add_co_u32_e32 v6, vcc, s30, v6
	v_addc_co_u32_e32 v7, vcc, v11, v7, vcc
	global_load_ushort v10, v[6:7], off
	global_load_ushort v11, v[8:9], off
	s_waitcnt vmcnt(2)
	v_subrev_u32_e32 v7, s34, v12
	s_waitcnt vmcnt(1)
	v_lshlrev_b32_e32 v6, 16, v10
	s_waitcnt vmcnt(0)
	v_lshlrev_b32_e32 v8, 16, v11
	v_mul_f32_e32 v6, v8, v6
.LBB71_5:
	s_or_b64 exec, exec, s[0:1]
	v_lshlrev_b32_e32 v11, 2, v0
	v_or_b32_e32 v12, 0x400, v11
	v_cmp_eq_u32_e64 s[18:19], 0, v0
	v_cmp_ne_u32_e64 s[0:1], 0, v0
	v_add_u32_e32 v13, -4, v11
	ds_write2st64_b32 v11, v7, v6 offset1:4
	s_waitcnt lgkmcnt(0)
	s_barrier
	s_and_saveexec_b64 s[2:3], s[0:1]
	s_cbranch_execz .LBB71_9
; %bb.6:
	ds_read_b32 v8, v13
	s_waitcnt lgkmcnt(0)
	v_cmp_eq_u32_e32 vcc, v7, v8
	s_and_saveexec_b64 s[6:7], vcc
	s_cbranch_execz .LBB71_8
; %bb.7:
	v_add_u32_e32 v8, -4, v12
	ds_read_b32 v8, v8
	s_waitcnt lgkmcnt(0)
	v_add_f32_e32 v6, v6, v8
.LBB71_8:
	s_or_b64 exec, exec, s[6:7]
.LBB71_9:
	s_or_b64 exec, exec, s[2:3]
	v_cmp_lt_u32_e64 s[2:3], 1, v0
	v_add_u32_e32 v14, -8, v11
	s_barrier
	ds_write_b32 v12, v6
	s_waitcnt lgkmcnt(0)
	s_barrier
	s_and_saveexec_b64 s[6:7], s[2:3]
	s_cbranch_execz .LBB71_13
; %bb.10:
	ds_read_b32 v8, v14
	s_waitcnt lgkmcnt(0)
	v_cmp_eq_u32_e32 vcc, v7, v8
	s_and_saveexec_b64 s[8:9], vcc
	s_cbranch_execz .LBB71_12
; %bb.11:
	v_add_u32_e32 v8, -8, v12
	ds_read_b32 v8, v8
	s_waitcnt lgkmcnt(0)
	v_add_f32_e32 v6, v6, v8
.LBB71_12:
	s_or_b64 exec, exec, s[8:9]
.LBB71_13:
	s_or_b64 exec, exec, s[6:7]
	v_cmp_lt_u32_e64 s[20:21], 3, v0
	v_add_u32_e32 v15, -16, v11
	s_barrier
	ds_write_b32 v12, v6
	s_waitcnt lgkmcnt(0)
	s_barrier
	s_and_saveexec_b64 s[6:7], s[20:21]
	s_cbranch_execz .LBB71_17
; %bb.14:
	ds_read_b32 v8, v15
	s_waitcnt lgkmcnt(0)
	v_cmp_eq_u32_e32 vcc, v7, v8
	s_and_saveexec_b64 s[8:9], vcc
	s_cbranch_execz .LBB71_16
; %bb.15:
	v_add_u32_e32 v8, -16, v12
	ds_read_b32 v8, v8
	s_waitcnt lgkmcnt(0)
	v_add_f32_e32 v6, v6, v8
.LBB71_16:
	s_or_b64 exec, exec, s[8:9]
.LBB71_17:
	s_or_b64 exec, exec, s[6:7]
	v_cmp_lt_u32_e64 s[6:7], 7, v0
	v_subrev_u32_e32 v16, 32, v11
	s_barrier
	ds_write_b32 v12, v6
	s_waitcnt lgkmcnt(0)
	s_barrier
	s_and_saveexec_b64 s[8:9], s[6:7]
	s_cbranch_execz .LBB71_21
; %bb.18:
	ds_read_b32 v8, v16
	s_waitcnt lgkmcnt(0)
	v_cmp_eq_u32_e32 vcc, v7, v8
	s_and_saveexec_b64 s[10:11], vcc
	s_cbranch_execz .LBB71_20
; %bb.19:
	v_subrev_u32_e32 v8, 32, v12
	ds_read_b32 v8, v8
	s_waitcnt lgkmcnt(0)
	v_add_f32_e32 v6, v6, v8
.LBB71_20:
	s_or_b64 exec, exec, s[10:11]
.LBB71_21:
	s_or_b64 exec, exec, s[8:9]
	v_cmp_lt_u32_e64 s[8:9], 15, v0
	v_subrev_u32_e32 v17, 64, v11
	s_barrier
	ds_write_b32 v12, v6
	s_waitcnt lgkmcnt(0)
	s_barrier
	s_and_saveexec_b64 s[10:11], s[8:9]
	s_cbranch_execz .LBB71_25
; %bb.22:
	ds_read_b32 v8, v17
	s_waitcnt lgkmcnt(0)
	v_cmp_eq_u32_e32 vcc, v7, v8
	s_and_saveexec_b64 s[12:13], vcc
	s_cbranch_execz .LBB71_24
; %bb.23:
	v_subrev_u32_e32 v8, 64, v12
	ds_read_b32 v8, v8
	s_waitcnt lgkmcnt(0)
	v_add_f32_e32 v6, v6, v8
.LBB71_24:
	s_or_b64 exec, exec, s[12:13]
.LBB71_25:
	s_or_b64 exec, exec, s[10:11]
	v_cmp_lt_u32_e64 s[10:11], 31, v0
	s_barrier
	ds_write_b32 v12, v6
	s_waitcnt lgkmcnt(0)
	s_barrier
	s_and_saveexec_b64 s[12:13], s[10:11]
	s_cbranch_execz .LBB71_29
; %bb.26:
	v_add_u32_e32 v8, 0xffffff80, v11
	ds_read_b32 v8, v8
	s_waitcnt lgkmcnt(0)
	v_cmp_eq_u32_e32 vcc, v7, v8
	s_and_saveexec_b64 s[14:15], vcc
	s_cbranch_execz .LBB71_28
; %bb.27:
	v_add_u32_e32 v8, 0xffffff80, v12
	ds_read_b32 v8, v8
	s_waitcnt lgkmcnt(0)
	v_add_f32_e32 v6, v6, v8
.LBB71_28:
	s_or_b64 exec, exec, s[14:15]
.LBB71_29:
	s_or_b64 exec, exec, s[12:13]
	v_cmp_lt_u32_e64 s[12:13], 63, v0
	s_barrier
	ds_write_b32 v12, v6
	s_waitcnt lgkmcnt(0)
	s_barrier
	s_and_saveexec_b64 s[14:15], s[12:13]
	s_cbranch_execz .LBB71_33
; %bb.30:
	v_add_u32_e32 v8, 0xffffff00, v11
	ds_read_b32 v8, v8
	s_waitcnt lgkmcnt(0)
	v_cmp_eq_u32_e32 vcc, v7, v8
	s_and_saveexec_b64 s[16:17], vcc
	s_cbranch_execz .LBB71_32
; %bb.31:
	v_add_u32_e32 v8, 0xffffff00, v12
	ds_read_b32 v8, v8
	s_waitcnt lgkmcnt(0)
	v_add_f32_e32 v6, v6, v8
.LBB71_32:
	s_or_b64 exec, exec, s[16:17]
.LBB71_33:
	s_or_b64 exec, exec, s[14:15]
	s_load_dwordx2 s[22:23], s[4:5], 0x30
	s_movk_i32 s4, 0x7f
	v_cmp_lt_u32_e64 s[14:15], s4, v0
	s_waitcnt lgkmcnt(0)
	s_barrier
	ds_write_b32 v12, v6
	s_waitcnt lgkmcnt(0)
	s_barrier
	s_and_saveexec_b64 s[4:5], s[14:15]
	s_cbranch_execz .LBB71_37
; %bb.34:
	v_add_u32_e32 v8, 0xfffffe00, v11
	ds_read_b32 v8, v8
	s_waitcnt lgkmcnt(0)
	v_cmp_eq_u32_e32 vcc, v7, v8
	s_and_saveexec_b64 s[16:17], vcc
	s_cbranch_execz .LBB71_36
; %bb.35:
	v_add_u32_e32 v8, 0xfffffe00, v12
	ds_read_b32 v8, v8
	s_waitcnt lgkmcnt(0)
	v_add_f32_e32 v6, v6, v8
.LBB71_36:
	s_or_b64 exec, exec, s[16:17]
.LBB71_37:
	s_or_b64 exec, exec, s[4:5]
	s_movk_i32 s4, 0xff
	v_cmp_gt_u32_e64 s[16:17], s4, v0
	s_barrier
	ds_write_b32 v12, v6
	s_waitcnt lgkmcnt(0)
	s_barrier
	s_and_saveexec_b64 s[40:41], s[16:17]
	s_cbranch_execz .LBB71_41
; %bb.38:
	ds_read_b32 v8, v11 offset:4
	v_cmp_lt_i32_e64 s[4:5], -1, v7
	s_waitcnt lgkmcnt(0)
	v_cmp_ne_u32_e32 vcc, v7, v8
	s_and_b64 s[4:5], s[4:5], vcc
	s_and_b64 exec, exec, s[4:5]
	s_cbranch_execz .LBB71_41
; %bb.39:
	v_mov_b32_e32 v8, 0
	v_lshlrev_b64 v[7:8], 2, v[7:8]
	v_mov_b32_e32 v9, s23
	v_add_co_u32_e32 v7, vcc, s22, v7
	v_addc_co_u32_e32 v8, vcc, v9, v8, vcc
	global_load_dword v10, v[7:8], off
	v_mul_f32_e32 v6, s38, v6
	s_mov_b64 s[4:5], 0
.LBB71_40:                              ; =>This Inner Loop Header: Depth=1
	s_waitcnt vmcnt(0)
	v_add_f32_e32 v9, v10, v6
	global_atomic_cmpswap v9, v[7:8], v[9:10], off glc
	s_waitcnt vmcnt(0)
	v_cmp_eq_u32_e32 vcc, v9, v10
	s_or_b64 s[4:5], vcc, s[4:5]
	v_mov_b32_e32 v10, v9
	s_andn2_b64 exec, exec, s[4:5]
	s_cbranch_execnz .LBB71_40
.LBB71_41:
	s_or_b64 exec, exec, s[40:41]
	v_add_co_u32_e32 v5, vcc, 0x100, v5
	v_addc_co_u32_e64 v6, s[4:5], 0, 0, vcc
	v_cmp_gt_i64_e32 vcc, s[36:37], v[5:6]
	v_mov_b32_e32 v5, -1
	v_mov_b32_e32 v7, 0
	s_and_saveexec_b64 s[4:5], vcc
	s_cbranch_execz .LBB71_43
; %bb.42:
	v_mov_b32_e32 v6, s27
	v_add_co_u32_e32 v5, vcc, s26, v3
	v_addc_co_u32_e32 v6, vcc, v6, v4, vcc
	global_load_dword v5, v[5:6], off offset:1024 glc slc
	v_mov_b32_e32 v6, s25
	v_add_co_u32_e32 v3, vcc, s24, v3
	v_addc_co_u32_e32 v4, vcc, v6, v4, vcc
	global_load_dword v6, v[3:4], off offset:1024 glc slc
	v_mov_b32_e32 v7, s29
	v_add_co_u32_e32 v1, vcc, s28, v1
	v_addc_co_u32_e32 v2, vcc, v7, v2, vcc
	v_mov_b32_e32 v8, s31
	s_waitcnt vmcnt(1)
	v_subrev_u32_e32 v3, s34, v5
	v_ashrrev_i32_e32 v4, 31, v3
	v_lshlrev_b64 v[3:4], 1, v[3:4]
	v_add_co_u32_e32 v3, vcc, s30, v3
	v_addc_co_u32_e32 v4, vcc, v8, v4, vcc
	global_load_ushort v7, v[3:4], off
	global_load_ushort v8, v[1:2], off offset:512
	s_waitcnt vmcnt(2)
	v_subrev_u32_e32 v5, s34, v6
	s_waitcnt vmcnt(1)
	v_lshlrev_b32_e32 v1, 16, v7
	s_waitcnt vmcnt(0)
	v_lshlrev_b32_e32 v2, 16, v8
	v_mul_f32_e32 v7, v2, v1
.LBB71_43:
	s_or_b64 exec, exec, s[4:5]
	s_and_saveexec_b64 s[4:5], s[18:19]
	s_cbranch_execz .LBB71_53
; %bb.44:
	v_mov_b32_e32 v1, 0
	ds_read_b32 v1, v1 offset:1020
	s_waitcnt lgkmcnt(0)
	v_readfirstlane_b32 s26, v1
	v_cmp_ne_u32_e32 vcc, v5, v1
	s_and_saveexec_b64 s[18:19], vcc
	s_xor_b64 s[18:19], exec, s[18:19]
	s_cbranch_execz .LBB71_50
; %bb.45:
	s_cmp_lt_i32 s26, 0
	s_cbranch_scc1 .LBB71_50
; %bb.46:
	s_mov_b64 s[28:29], exec
	v_mbcnt_lo_u32_b32 v1, s28, 0
	v_mbcnt_hi_u32_b32 v1, s29, v1
	v_cmp_eq_u32_e32 vcc, 0, v1
	s_and_saveexec_b64 s[24:25], vcc
	s_cbranch_execz .LBB71_49
; %bb.47:
	s_mov_b32 s27, 0
	s_lshl_b64 s[26:27], s[26:27], 2
	s_add_u32 s26, s22, s26
	s_addc_u32 s27, s23, s27
	v_mov_b32_e32 v3, 0
	global_load_dword v2, v3, s[26:27]
	ds_read_b32 v1, v3 offset:2044
	s_bcnt1_i32_b64 s28, s[28:29]
	v_cvt_f32_ubyte0_e32 v4, s28
	s_mov_b64 s[28:29], 0
	s_waitcnt lgkmcnt(0)
	v_mul_f32_e32 v1, s38, v1
	v_mul_f32_e32 v4, v1, v4
.LBB71_48:                              ; =>This Inner Loop Header: Depth=1
	s_waitcnt vmcnt(0)
	v_add_f32_e32 v1, v2, v4
	global_atomic_cmpswap v1, v3, v[1:2], s[26:27] glc
	s_waitcnt vmcnt(0)
	v_cmp_eq_u32_e32 vcc, v1, v2
	s_or_b64 s[28:29], vcc, s[28:29]
	v_mov_b32_e32 v2, v1
	s_andn2_b64 exec, exec, s[28:29]
	s_cbranch_execnz .LBB71_48
.LBB71_49:
	s_or_b64 exec, exec, s[24:25]
.LBB71_50:
	s_andn2_saveexec_b64 s[18:19], s[18:19]
	s_cbranch_execz .LBB71_52
; %bb.51:
	v_mov_b32_e32 v1, 0
	ds_read_b32 v1, v1 offset:2044
	s_waitcnt lgkmcnt(0)
	v_add_f32_e32 v7, v7, v1
.LBB71_52:
	s_or_b64 exec, exec, s[18:19]
.LBB71_53:
	s_or_b64 exec, exec, s[4:5]
	s_barrier
	ds_write_b32 v11, v5
	ds_write_b32 v12, v7
	s_waitcnt lgkmcnt(0)
	s_barrier
	s_and_saveexec_b64 s[4:5], s[0:1]
	s_cbranch_execz .LBB71_57
; %bb.54:
	ds_read_b32 v1, v13
	s_waitcnt lgkmcnt(0)
	v_cmp_eq_u32_e32 vcc, v5, v1
	s_and_saveexec_b64 s[0:1], vcc
	s_cbranch_execz .LBB71_56
; %bb.55:
	v_add_u32_e32 v1, -4, v12
	ds_read_b32 v1, v1
	s_waitcnt lgkmcnt(0)
	v_add_f32_e32 v7, v7, v1
.LBB71_56:
	s_or_b64 exec, exec, s[0:1]
.LBB71_57:
	s_or_b64 exec, exec, s[4:5]
	s_barrier
	ds_write_b32 v12, v7
	s_waitcnt lgkmcnt(0)
	s_barrier
	s_and_saveexec_b64 s[0:1], s[2:3]
	s_cbranch_execz .LBB71_61
; %bb.58:
	ds_read_b32 v1, v14
	s_waitcnt lgkmcnt(0)
	v_cmp_eq_u32_e32 vcc, v5, v1
	s_and_saveexec_b64 s[2:3], vcc
	s_cbranch_execz .LBB71_60
; %bb.59:
	v_add_u32_e32 v1, -8, v12
	ds_read_b32 v1, v1
	s_waitcnt lgkmcnt(0)
	v_add_f32_e32 v7, v7, v1
.LBB71_60:
	s_or_b64 exec, exec, s[2:3]
.LBB71_61:
	s_or_b64 exec, exec, s[0:1]
	s_barrier
	;; [unrolled: 21-line block ×3, first 2 shown]
	ds_write_b32 v12, v7
	s_waitcnt lgkmcnt(0)
	s_barrier
	s_and_saveexec_b64 s[0:1], s[6:7]
	s_cbranch_execz .LBB71_69
; %bb.66:
	ds_read_b32 v1, v16
	s_waitcnt lgkmcnt(0)
	v_cmp_eq_u32_e32 vcc, v5, v1
	s_and_saveexec_b64 s[2:3], vcc
	s_cbranch_execz .LBB71_68
; %bb.67:
	v_subrev_u32_e32 v1, 32, v12
	ds_read_b32 v1, v1
	s_waitcnt lgkmcnt(0)
	v_add_f32_e32 v7, v7, v1
.LBB71_68:
	s_or_b64 exec, exec, s[2:3]
.LBB71_69:
	s_or_b64 exec, exec, s[0:1]
	s_barrier
	ds_write_b32 v12, v7
	s_waitcnt lgkmcnt(0)
	s_barrier
	s_and_saveexec_b64 s[0:1], s[8:9]
	s_cbranch_execz .LBB71_73
; %bb.70:
	ds_read_b32 v1, v17
	s_waitcnt lgkmcnt(0)
	v_cmp_eq_u32_e32 vcc, v5, v1
	s_and_saveexec_b64 s[2:3], vcc
	s_cbranch_execz .LBB71_72
; %bb.71:
	v_subrev_u32_e32 v1, 64, v12
	ds_read_b32 v1, v1
	s_waitcnt lgkmcnt(0)
	v_add_f32_e32 v7, v7, v1
.LBB71_72:
	s_or_b64 exec, exec, s[2:3]
.LBB71_73:
	s_or_b64 exec, exec, s[0:1]
	s_barrier
	ds_write_b32 v12, v7
	s_waitcnt lgkmcnt(0)
	s_barrier
	s_and_saveexec_b64 s[0:1], s[10:11]
	s_cbranch_execz .LBB71_77
; %bb.74:
	v_add_u32_e32 v1, 0xffffff80, v11
	ds_read_b32 v1, v1
	s_waitcnt lgkmcnt(0)
	v_cmp_eq_u32_e32 vcc, v5, v1
	s_and_saveexec_b64 s[2:3], vcc
	s_cbranch_execz .LBB71_76
; %bb.75:
	v_add_u32_e32 v1, 0xffffff80, v12
	ds_read_b32 v1, v1
	s_waitcnt lgkmcnt(0)
	v_add_f32_e32 v7, v7, v1
.LBB71_76:
	s_or_b64 exec, exec, s[2:3]
.LBB71_77:
	s_or_b64 exec, exec, s[0:1]
	s_barrier
	ds_write_b32 v12, v7
	s_waitcnt lgkmcnt(0)
	s_barrier
	s_and_saveexec_b64 s[0:1], s[12:13]
	s_cbranch_execz .LBB71_81
; %bb.78:
	v_add_u32_e32 v1, 0xffffff00, v11
	ds_read_b32 v1, v1
	s_waitcnt lgkmcnt(0)
	v_cmp_eq_u32_e32 vcc, v5, v1
	s_and_saveexec_b64 s[2:3], vcc
	s_cbranch_execz .LBB71_80
; %bb.79:
	v_add_u32_e32 v1, 0xffffff00, v12
	ds_read_b32 v1, v1
	s_waitcnt lgkmcnt(0)
	v_add_f32_e32 v7, v7, v1
.LBB71_80:
	s_or_b64 exec, exec, s[2:3]
.LBB71_81:
	;; [unrolled: 22-line block ×3, first 2 shown]
	s_or_b64 exec, exec, s[0:1]
	s_barrier
	ds_write_b32 v12, v7
	s_waitcnt lgkmcnt(0)
	s_barrier
	s_and_saveexec_b64 s[2:3], s[16:17]
	s_cbranch_execz .LBB71_89
; %bb.86:
	ds_read_b32 v1, v11 offset:4
	v_cmp_lt_i32_e64 s[0:1], -1, v5
	s_waitcnt lgkmcnt(0)
	v_cmp_ne_u32_e32 vcc, v5, v1
	s_and_b64 s[0:1], s[0:1], vcc
	s_and_b64 exec, exec, s[0:1]
	s_cbranch_execz .LBB71_89
; %bb.87:
	v_mov_b32_e32 v6, 0
	v_lshlrev_b64 v[1:2], 2, v[5:6]
	v_mov_b32_e32 v3, s23
	v_add_co_u32_e32 v1, vcc, s22, v1
	v_addc_co_u32_e32 v2, vcc, v3, v2, vcc
	global_load_dword v4, v[1:2], off
	v_mul_f32_e32 v6, s38, v7
	s_mov_b64 s[0:1], 0
.LBB71_88:                              ; =>This Inner Loop Header: Depth=1
	s_waitcnt vmcnt(0)
	v_add_f32_e32 v3, v4, v6
	global_atomic_cmpswap v3, v[1:2], v[3:4], off glc
	s_waitcnt vmcnt(0)
	v_cmp_eq_u32_e32 vcc, v3, v4
	s_or_b64 s[0:1], vcc, s[0:1]
	v_mov_b32_e32 v4, v3
	s_andn2_b64 exec, exec, s[0:1]
	s_cbranch_execnz .LBB71_88
.LBB71_89:
	s_or_b64 exec, exec, s[2:3]
	s_movk_i32 s0, 0xff
	v_cmp_eq_u32_e32 vcc, s0, v0
	v_cmp_lt_i32_e64 s[0:1], -1, v5
	s_and_b64 s[0:1], vcc, s[0:1]
	s_and_saveexec_b64 s[2:3], s[0:1]
	s_cbranch_execz .LBB71_92
; %bb.90:
	v_mov_b32_e32 v6, 0
	v_lshlrev_b64 v[0:1], 2, v[5:6]
	v_mov_b32_e32 v2, s23
	v_add_co_u32_e32 v0, vcc, s22, v0
	v_addc_co_u32_e32 v1, vcc, v2, v1, vcc
	global_load_dword v3, v[0:1], off
	v_mul_f32_e32 v4, s38, v7
	s_mov_b64 s[0:1], 0
.LBB71_91:                              ; =>This Inner Loop Header: Depth=1
	s_waitcnt vmcnt(0)
	v_add_f32_e32 v2, v3, v4
	global_atomic_cmpswap v2, v[0:1], v[2:3], off glc
	s_waitcnt vmcnt(0)
	v_cmp_eq_u32_e32 vcc, v2, v3
	s_or_b64 s[0:1], vcc, s[0:1]
	v_mov_b32_e32 v3, v2
	s_andn2_b64 exec, exec, s[0:1]
	s_cbranch_execnz .LBB71_91
.LBB71_92:
	s_endpgm
	.section	.rodata,"a",@progbits
	.p2align	6, 0x0
	.amdhsa_kernel _ZN9rocsparseL19coomvn_atomic_loopsILj256ELj2Ei18rocsparse_bfloat16S1_ffEEvlNS_24const_host_device_scalarIT5_EEPKT1_S7_PKT2_PKT3_PT4_21rocsparse_index_base_b
		.amdhsa_group_segment_fixed_size 2048
		.amdhsa_private_segment_fixed_size 0
		.amdhsa_kernarg_size 64
		.amdhsa_user_sgpr_count 6
		.amdhsa_user_sgpr_private_segment_buffer 1
		.amdhsa_user_sgpr_dispatch_ptr 0
		.amdhsa_user_sgpr_queue_ptr 0
		.amdhsa_user_sgpr_kernarg_segment_ptr 1
		.amdhsa_user_sgpr_dispatch_id 0
		.amdhsa_user_sgpr_flat_scratch_init 0
		.amdhsa_user_sgpr_private_segment_size 0
		.amdhsa_uses_dynamic_stack 0
		.amdhsa_system_sgpr_private_segment_wavefront_offset 0
		.amdhsa_system_sgpr_workgroup_id_x 1
		.amdhsa_system_sgpr_workgroup_id_y 0
		.amdhsa_system_sgpr_workgroup_id_z 0
		.amdhsa_system_sgpr_workgroup_info 0
		.amdhsa_system_vgpr_workitem_id 0
		.amdhsa_next_free_vgpr 18
		.amdhsa_next_free_sgpr 42
		.amdhsa_reserve_vcc 1
		.amdhsa_reserve_flat_scratch 0
		.amdhsa_float_round_mode_32 0
		.amdhsa_float_round_mode_16_64 0
		.amdhsa_float_denorm_mode_32 3
		.amdhsa_float_denorm_mode_16_64 3
		.amdhsa_dx10_clamp 1
		.amdhsa_ieee_mode 1
		.amdhsa_fp16_overflow 0
		.amdhsa_exception_fp_ieee_invalid_op 0
		.amdhsa_exception_fp_denorm_src 0
		.amdhsa_exception_fp_ieee_div_zero 0
		.amdhsa_exception_fp_ieee_overflow 0
		.amdhsa_exception_fp_ieee_underflow 0
		.amdhsa_exception_fp_ieee_inexact 0
		.amdhsa_exception_int_div_zero 0
	.end_amdhsa_kernel
	.section	.text._ZN9rocsparseL19coomvn_atomic_loopsILj256ELj2Ei18rocsparse_bfloat16S1_ffEEvlNS_24const_host_device_scalarIT5_EEPKT1_S7_PKT2_PKT3_PT4_21rocsparse_index_base_b,"axG",@progbits,_ZN9rocsparseL19coomvn_atomic_loopsILj256ELj2Ei18rocsparse_bfloat16S1_ffEEvlNS_24const_host_device_scalarIT5_EEPKT1_S7_PKT2_PKT3_PT4_21rocsparse_index_base_b,comdat
.Lfunc_end71:
	.size	_ZN9rocsparseL19coomvn_atomic_loopsILj256ELj2Ei18rocsparse_bfloat16S1_ffEEvlNS_24const_host_device_scalarIT5_EEPKT1_S7_PKT2_PKT3_PT4_21rocsparse_index_base_b, .Lfunc_end71-_ZN9rocsparseL19coomvn_atomic_loopsILj256ELj2Ei18rocsparse_bfloat16S1_ffEEvlNS_24const_host_device_scalarIT5_EEPKT1_S7_PKT2_PKT3_PT4_21rocsparse_index_base_b
                                        ; -- End function
	.set _ZN9rocsparseL19coomvn_atomic_loopsILj256ELj2Ei18rocsparse_bfloat16S1_ffEEvlNS_24const_host_device_scalarIT5_EEPKT1_S7_PKT2_PKT3_PT4_21rocsparse_index_base_b.num_vgpr, 18
	.set _ZN9rocsparseL19coomvn_atomic_loopsILj256ELj2Ei18rocsparse_bfloat16S1_ffEEvlNS_24const_host_device_scalarIT5_EEPKT1_S7_PKT2_PKT3_PT4_21rocsparse_index_base_b.num_agpr, 0
	.set _ZN9rocsparseL19coomvn_atomic_loopsILj256ELj2Ei18rocsparse_bfloat16S1_ffEEvlNS_24const_host_device_scalarIT5_EEPKT1_S7_PKT2_PKT3_PT4_21rocsparse_index_base_b.numbered_sgpr, 42
	.set _ZN9rocsparseL19coomvn_atomic_loopsILj256ELj2Ei18rocsparse_bfloat16S1_ffEEvlNS_24const_host_device_scalarIT5_EEPKT1_S7_PKT2_PKT3_PT4_21rocsparse_index_base_b.num_named_barrier, 0
	.set _ZN9rocsparseL19coomvn_atomic_loopsILj256ELj2Ei18rocsparse_bfloat16S1_ffEEvlNS_24const_host_device_scalarIT5_EEPKT1_S7_PKT2_PKT3_PT4_21rocsparse_index_base_b.private_seg_size, 0
	.set _ZN9rocsparseL19coomvn_atomic_loopsILj256ELj2Ei18rocsparse_bfloat16S1_ffEEvlNS_24const_host_device_scalarIT5_EEPKT1_S7_PKT2_PKT3_PT4_21rocsparse_index_base_b.uses_vcc, 1
	.set _ZN9rocsparseL19coomvn_atomic_loopsILj256ELj2Ei18rocsparse_bfloat16S1_ffEEvlNS_24const_host_device_scalarIT5_EEPKT1_S7_PKT2_PKT3_PT4_21rocsparse_index_base_b.uses_flat_scratch, 0
	.set _ZN9rocsparseL19coomvn_atomic_loopsILj256ELj2Ei18rocsparse_bfloat16S1_ffEEvlNS_24const_host_device_scalarIT5_EEPKT1_S7_PKT2_PKT3_PT4_21rocsparse_index_base_b.has_dyn_sized_stack, 0
	.set _ZN9rocsparseL19coomvn_atomic_loopsILj256ELj2Ei18rocsparse_bfloat16S1_ffEEvlNS_24const_host_device_scalarIT5_EEPKT1_S7_PKT2_PKT3_PT4_21rocsparse_index_base_b.has_recursion, 0
	.set _ZN9rocsparseL19coomvn_atomic_loopsILj256ELj2Ei18rocsparse_bfloat16S1_ffEEvlNS_24const_host_device_scalarIT5_EEPKT1_S7_PKT2_PKT3_PT4_21rocsparse_index_base_b.has_indirect_call, 0
	.section	.AMDGPU.csdata,"",@progbits
; Kernel info:
; codeLenInByte = 2540
; TotalNumSgprs: 46
; NumVgprs: 18
; ScratchSize: 0
; MemoryBound: 0
; FloatMode: 240
; IeeeMode: 1
; LDSByteSize: 2048 bytes/workgroup (compile time only)
; SGPRBlocks: 5
; VGPRBlocks: 4
; NumSGPRsForWavesPerEU: 46
; NumVGPRsForWavesPerEU: 18
; Occupancy: 10
; WaveLimiterHint : 1
; COMPUTE_PGM_RSRC2:SCRATCH_EN: 0
; COMPUTE_PGM_RSRC2:USER_SGPR: 6
; COMPUTE_PGM_RSRC2:TRAP_HANDLER: 0
; COMPUTE_PGM_RSRC2:TGID_X_EN: 1
; COMPUTE_PGM_RSRC2:TGID_Y_EN: 0
; COMPUTE_PGM_RSRC2:TGID_Z_EN: 0
; COMPUTE_PGM_RSRC2:TIDIG_COMP_CNT: 0
	.section	.text._ZN9rocsparseL22coomvn_segmented_loopsILj256El18rocsparse_bfloat16S1_ffEEvlT0_NS_24const_host_device_scalarIT4_EEPKS2_S7_PKT1_PKT2_PT3_PS2_PS4_21rocsparse_index_base_b,"axG",@progbits,_ZN9rocsparseL22coomvn_segmented_loopsILj256El18rocsparse_bfloat16S1_ffEEvlT0_NS_24const_host_device_scalarIT4_EEPKS2_S7_PKT1_PKT2_PT3_PS2_PS4_21rocsparse_index_base_b,comdat
	.globl	_ZN9rocsparseL22coomvn_segmented_loopsILj256El18rocsparse_bfloat16S1_ffEEvlT0_NS_24const_host_device_scalarIT4_EEPKS2_S7_PKT1_PKT2_PT3_PS2_PS4_21rocsparse_index_base_b ; -- Begin function _ZN9rocsparseL22coomvn_segmented_loopsILj256El18rocsparse_bfloat16S1_ffEEvlT0_NS_24const_host_device_scalarIT4_EEPKS2_S7_PKT1_PKT2_PT3_PS2_PS4_21rocsparse_index_base_b
	.p2align	8
	.type	_ZN9rocsparseL22coomvn_segmented_loopsILj256El18rocsparse_bfloat16S1_ffEEvlT0_NS_24const_host_device_scalarIT4_EEPKS2_S7_PKT1_PKT2_PT3_PS2_PS4_21rocsparse_index_base_b,@function
_ZN9rocsparseL22coomvn_segmented_loopsILj256El18rocsparse_bfloat16S1_ffEEvlT0_NS_24const_host_device_scalarIT4_EEPKS2_S7_PKT1_PKT2_PT3_PS2_PS4_21rocsparse_index_base_b: ; @_ZN9rocsparseL22coomvn_segmented_loopsILj256El18rocsparse_bfloat16S1_ffEEvlT0_NS_24const_host_device_scalarIT4_EEPKS2_S7_PKT1_PKT2_PT3_PS2_PS4_21rocsparse_index_base_b
; %bb.0:
	s_load_dwordx2 s[44:45], s[4:5], 0x50
	s_load_dwordx2 s[34:35], s[4:5], 0x10
	s_waitcnt lgkmcnt(0)
	s_bitcmp1_b32 s45, 0
	s_cselect_b64 s[0:1], -1, 0
	s_and_b64 vcc, exec, s[0:1]
	s_cbranch_vccnz .LBB72_2
; %bb.1:
	s_load_dword s34, s[34:35], 0x0
.LBB72_2:
	s_waitcnt lgkmcnt(0)
	v_cmp_eq_f32_e64 s[0:1], s34, 0
	s_mov_b32 s7, 0
	s_and_b64 vcc, exec, s[0:1]
	s_cbranch_vccnz .LBB72_89
; %bb.3:
	s_load_dwordx4 s[28:31], s[4:5], 0x0
	s_load_dwordx8 s[36:43], s[4:5], 0x18
	v_mov_b32_e32 v1, -1
	v_mov_b32_e32 v2, -1
	v_mov_b32_e32 v18, 0
	s_waitcnt lgkmcnt(0)
	s_mul_i32 s1, s6, s31
	s_mul_hi_u32 s2, s6, s30
	s_mul_i32 s0, s6, s30
	s_add_i32 s1, s2, s1
	s_lshl_b64 s[0:1], s[0:1], 8
	v_or_b32_e32 v5, s0, v0
	v_mov_b32_e32 v6, s1
	v_cmp_gt_i64_e32 vcc, s[28:29], v[5:6]
	s_and_saveexec_b64 s[0:1], vcc
	s_cbranch_execz .LBB72_5
; %bb.4:
	v_lshlrev_b64 v[1:2], 3, v[5:6]
	v_mov_b32_e32 v4, s39
	v_add_co_u32_e32 v3, vcc, s38, v1
	v_addc_co_u32_e32 v4, vcc, v4, v2, vcc
	global_load_dwordx2 v[3:4], v[3:4], off glc slc
	v_mov_b32_e32 v9, s37
	v_lshlrev_b64 v[7:8], 1, v[5:6]
	v_add_co_u32_e32 v1, vcc, s36, v1
	v_addc_co_u32_e32 v2, vcc, v9, v2, vcc
	v_mov_b32_e32 v10, s41
	v_add_co_u32_e32 v7, vcc, s40, v7
	v_addc_co_u32_e32 v8, vcc, v10, v8, vcc
	global_load_dwordx2 v[9:10], v[1:2], off glc slc
	global_load_ushort v13, v[7:8], off
	v_mov_b32_e32 v11, s43
	s_ashr_i32 s45, s44, 31
	s_lshl_b64 s[2:3], s[44:45], 1
	v_mov_b32_e32 v12, s3
	s_waitcnt vmcnt(2)
	v_lshlrev_b64 v[1:2], 1, v[3:4]
	v_add_co_u32_e32 v1, vcc, s42, v1
	v_addc_co_u32_e32 v2, vcc, v11, v2, vcc
	v_subrev_co_u32_e32 v1, vcc, s2, v1
	v_subb_co_u32_e32 v2, vcc, v2, v12, vcc
	global_load_ushort v3, v[1:2], off
	s_waitcnt vmcnt(2)
	v_subrev_co_u32_e32 v1, vcc, s44, v9
	s_waitcnt vmcnt(1)
	v_lshlrev_b32_e32 v4, 16, v13
	v_subbrev_co_u32_e32 v2, vcc, 0, v10, vcc
	s_waitcnt vmcnt(0)
	v_lshlrev_b32_e32 v3, 16, v3
	v_mul_f32_e32 v18, v4, v3
.LBB72_5:
	s_or_b64 exec, exec, s[0:1]
	v_lshlrev_b32_e32 v13, 3, v0
	v_lshlrev_b32_e32 v3, 2, v0
	v_or_b32_e32 v14, 0x800, v3
	v_cmp_eq_u32_e64 s[0:1], 0, v0
	v_cmp_ne_u32_e64 s[2:3], 0, v0
	v_add_u32_e32 v15, -8, v13
	ds_write_b64 v13, v[1:2]
	ds_write_b32 v3, v18 offset:2048
	s_waitcnt lgkmcnt(0)
	s_barrier
	s_and_saveexec_b64 s[8:9], s[2:3]
	s_cbranch_execz .LBB72_9
; %bb.6:
	ds_read_b64 v[3:4], v15
	s_waitcnt lgkmcnt(0)
	v_cmp_eq_u64_e32 vcc, v[1:2], v[3:4]
	s_and_saveexec_b64 s[10:11], vcc
	s_cbranch_execz .LBB72_8
; %bb.7:
	v_add_u32_e32 v3, -4, v14
	ds_read_b32 v3, v3
	s_waitcnt lgkmcnt(0)
	v_add_f32_e32 v18, v18, v3
.LBB72_8:
	s_or_b64 exec, exec, s[10:11]
.LBB72_9:
	s_or_b64 exec, exec, s[8:9]
	v_cmp_lt_u32_e64 s[22:23], 1, v0
	v_add_u32_e32 v16, -16, v13
	s_barrier
	ds_write_b32 v14, v18
	s_waitcnt lgkmcnt(0)
	s_barrier
	s_and_saveexec_b64 s[8:9], s[22:23]
	s_cbranch_execz .LBB72_13
; %bb.10:
	ds_read_b64 v[3:4], v16
	s_waitcnt lgkmcnt(0)
	v_cmp_eq_u64_e32 vcc, v[1:2], v[3:4]
	s_and_saveexec_b64 s[10:11], vcc
	s_cbranch_execz .LBB72_12
; %bb.11:
	v_add_u32_e32 v3, -8, v14
	ds_read_b32 v3, v3
	s_waitcnt lgkmcnt(0)
	v_add_f32_e32 v18, v18, v3
.LBB72_12:
	s_or_b64 exec, exec, s[10:11]
.LBB72_13:
	s_or_b64 exec, exec, s[8:9]
	v_cmp_lt_u32_e64 s[8:9], 3, v0
	v_subrev_u32_e32 v17, 32, v13
	s_barrier
	ds_write_b32 v14, v18
	s_waitcnt lgkmcnt(0)
	s_barrier
	s_and_saveexec_b64 s[10:11], s[8:9]
	s_cbranch_execz .LBB72_17
; %bb.14:
	ds_read_b64 v[3:4], v17
	s_waitcnt lgkmcnt(0)
	v_cmp_eq_u64_e32 vcc, v[1:2], v[3:4]
	s_and_saveexec_b64 s[12:13], vcc
	s_cbranch_execz .LBB72_16
; %bb.15:
	v_add_u32_e32 v3, -16, v14
	ds_read_b32 v3, v3
	s_waitcnt lgkmcnt(0)
	v_add_f32_e32 v18, v18, v3
.LBB72_16:
	s_or_b64 exec, exec, s[12:13]
.LBB72_17:
	s_or_b64 exec, exec, s[10:11]
	v_cmp_lt_u32_e64 s[10:11], 7, v0
	v_subrev_u32_e32 v19, 64, v13
	s_barrier
	ds_write_b32 v14, v18
	s_waitcnt lgkmcnt(0)
	s_barrier
	s_and_saveexec_b64 s[12:13], s[10:11]
	s_cbranch_execz .LBB72_21
; %bb.18:
	ds_read_b64 v[3:4], v19
	s_waitcnt lgkmcnt(0)
	v_cmp_eq_u64_e32 vcc, v[1:2], v[3:4]
	s_and_saveexec_b64 s[14:15], vcc
	s_cbranch_execz .LBB72_20
; %bb.19:
	v_subrev_u32_e32 v3, 32, v14
	ds_read_b32 v3, v3
	s_waitcnt lgkmcnt(0)
	v_add_f32_e32 v18, v18, v3
.LBB72_20:
	s_or_b64 exec, exec, s[14:15]
.LBB72_21:
	s_or_b64 exec, exec, s[12:13]
	v_cmp_lt_u32_e64 s[12:13], 15, v0
	s_barrier
	ds_write_b32 v14, v18
	s_waitcnt lgkmcnt(0)
	s_barrier
	s_and_saveexec_b64 s[14:15], s[12:13]
	s_cbranch_execz .LBB72_25
; %bb.22:
	v_add_u32_e32 v3, 0xffffff80, v13
	ds_read_b64 v[3:4], v3
	s_waitcnt lgkmcnt(0)
	v_cmp_eq_u64_e32 vcc, v[1:2], v[3:4]
	s_and_saveexec_b64 s[16:17], vcc
	s_cbranch_execz .LBB72_24
; %bb.23:
	v_subrev_u32_e32 v3, 64, v14
	ds_read_b32 v3, v3
	s_waitcnt lgkmcnt(0)
	v_add_f32_e32 v18, v18, v3
.LBB72_24:
	s_or_b64 exec, exec, s[16:17]
.LBB72_25:
	s_or_b64 exec, exec, s[14:15]
	v_cmp_lt_u32_e64 s[14:15], 31, v0
	s_barrier
	ds_write_b32 v14, v18
	s_waitcnt lgkmcnt(0)
	s_barrier
	s_and_saveexec_b64 s[16:17], s[14:15]
	s_cbranch_execz .LBB72_29
; %bb.26:
	v_add_u32_e32 v3, 0xffffff00, v13
	ds_read_b64 v[3:4], v3
	s_waitcnt lgkmcnt(0)
	v_cmp_eq_u64_e32 vcc, v[1:2], v[3:4]
	s_and_saveexec_b64 s[18:19], vcc
	s_cbranch_execz .LBB72_28
; %bb.27:
	v_add_u32_e32 v3, 0xffffff80, v14
	ds_read_b32 v3, v3
	s_waitcnt lgkmcnt(0)
	v_add_f32_e32 v18, v18, v3
.LBB72_28:
	s_or_b64 exec, exec, s[18:19]
.LBB72_29:
	s_or_b64 exec, exec, s[16:17]
	v_cmp_lt_u32_e64 s[16:17], 63, v0
	s_barrier
	ds_write_b32 v14, v18
	s_waitcnt lgkmcnt(0)
	s_barrier
	s_and_saveexec_b64 s[18:19], s[16:17]
	s_cbranch_execz .LBB72_33
; %bb.30:
	v_add_u32_e32 v3, 0xfffffe00, v13
	ds_read_b64 v[3:4], v3
	s_waitcnt lgkmcnt(0)
	v_cmp_eq_u64_e32 vcc, v[1:2], v[3:4]
	s_and_saveexec_b64 s[20:21], vcc
	s_cbranch_execz .LBB72_32
; %bb.31:
	v_add_u32_e32 v3, 0xffffff00, v14
	ds_read_b32 v3, v3
	s_waitcnt lgkmcnt(0)
	v_add_f32_e32 v18, v18, v3
.LBB72_32:
	s_or_b64 exec, exec, s[20:21]
.LBB72_33:
	s_or_b64 exec, exec, s[18:19]
	s_load_dwordx2 s[46:47], s[4:5], 0x38
	s_movk_i32 s18, 0x7f
	v_cmp_lt_u32_e64 s[18:19], s18, v0
	s_waitcnt lgkmcnt(0)
	s_barrier
	ds_write_b32 v14, v18
	s_waitcnt lgkmcnt(0)
	s_barrier
	s_and_saveexec_b64 s[20:21], s[18:19]
	s_cbranch_execz .LBB72_37
; %bb.34:
	v_add_u32_e32 v3, 0xfffffc00, v13
	ds_read_b64 v[3:4], v3
	s_waitcnt lgkmcnt(0)
	v_cmp_eq_u64_e32 vcc, v[1:2], v[3:4]
	s_and_saveexec_b64 s[24:25], vcc
	s_cbranch_execz .LBB72_36
; %bb.35:
	v_add_u32_e32 v3, 0xfffffe00, v14
	ds_read_b32 v3, v3
	s_waitcnt lgkmcnt(0)
	v_add_f32_e32 v18, v18, v3
.LBB72_36:
	s_or_b64 exec, exec, s[24:25]
.LBB72_37:
	s_or_b64 exec, exec, s[20:21]
	s_movk_i32 s20, 0xff
	v_cmp_gt_u32_e64 s[20:21], s20, v0
	s_barrier
	ds_write_b32 v14, v18
	s_waitcnt lgkmcnt(0)
	s_barrier
	s_and_saveexec_b64 s[26:27], s[20:21]
	s_cbranch_execz .LBB72_40
; %bb.38:
	ds_read_b64 v[3:4], v13 offset:8
	v_cmp_lt_i64_e64 s[24:25], -1, v[1:2]
	s_waitcnt lgkmcnt(0)
	v_cmp_ne_u64_e32 vcc, v[1:2], v[3:4]
	s_and_b64 s[24:25], s[24:25], vcc
	s_and_b64 exec, exec, s[24:25]
	s_cbranch_execz .LBB72_40
; %bb.39:
	v_lshlrev_b64 v[3:4], 2, v[1:2]
	v_mov_b32_e32 v7, s47
	v_add_co_u32_e32 v3, vcc, s46, v3
	v_addc_co_u32_e32 v4, vcc, v7, v4, vcc
	global_load_dword v7, v[3:4], off
	s_waitcnt vmcnt(0)
	v_fmac_f32_e32 v7, s34, v18
	global_store_dword v[3:4], v7, off
.LBB72_40:
	s_or_b64 exec, exec, s[26:27]
	s_load_dwordx4 s[24:27], s[4:5], 0x40
	v_cmp_lt_i64_e64 s[4:5], s[30:31], 2
	s_and_b64 vcc, exec, s[4:5]
	s_cbranch_vccnz .LBB72_87
; %bb.41:
	s_add_u32 s48, s30, -1
	s_addc_u32 s49, s31, -1
	s_ashr_i32 s45, s44, 31
	s_lshl_b64 s[4:5], s[44:45], 1
	s_sub_u32 s33, s42, s4
	s_subb_u32 s35, s43, s5
	s_mul_i32 s4, s31, s6
	s_mul_hi_u32 s5, s30, s6
	s_add_i32 s5, s5, s4
	s_mul_i32 s4, s30, s6
	s_lshl_b64 s[30:31], s[4:5], 11
	v_lshl_or_b32 v1, v0, 3, s30
	s_movk_i32 s30, 0x800
	v_mov_b32_e32 v2, s31
	v_add_co_u32_e32 v1, vcc, s30, v1
	v_addc_co_u32_e32 v2, vcc, 0, v2, vcc
	v_mov_b32_e32 v4, s39
	v_add_co_u32_e32 v3, vcc, s38, v1
	v_addc_co_u32_e32 v4, vcc, v4, v2, vcc
	v_mov_b32_e32 v8, s37
	v_add_co_u32_e32 v7, vcc, s36, v1
	s_lshl_b64 s[4:5], s[4:5], 9
	v_addc_co_u32_e32 v8, vcc, v8, v2, vcc
	s_movk_i32 s30, 0x100
	s_add_u32 s4, s40, s4
	v_add_co_u32_e32 v5, vcc, s30, v5
	v_lshlrev_b32_e32 v9, 1, v0
	s_addc_u32 s5, s41, s5
	v_addc_co_u32_e32 v6, vcc, 0, v6, vcc
	v_mov_b32_e32 v1, s5
	v_add_co_u32_e32 v2, vcc, s4, v9
	v_addc_co_u32_e32 v1, vcc, 0, v1, vcc
	s_movk_i32 s4, 0x200
	v_add_co_u32_e32 v9, vcc, s4, v2
	v_add_u32_e32 v20, 0xffffff80, v13
	v_subrev_u32_e32 v21, 64, v14
	v_add_u32_e32 v22, 0xffffff00, v13
	v_add_u32_e32 v23, 0xffffff80, v14
	v_addc_co_u32_e32 v10, vcc, 0, v1, vcc
	v_add_u32_e32 v24, 0xfffffe00, v13
	s_mov_b64 s[30:31], 0
	v_add_u32_e32 v25, 0xffffff00, v14
	v_add_u32_e32 v26, 0xfffffc00, v13
	;; [unrolled: 1-line block ×3, first 2 shown]
	v_mov_b32_e32 v28, 0
	s_branch .LBB72_43
.LBB72_42:                              ;   in Loop: Header=BB72_43 Depth=1
	s_or_b64 exec, exec, s[36:37]
	v_add_co_u32_e32 v3, vcc, 0x800, v3
	v_addc_co_u32_e32 v4, vcc, 0, v4, vcc
	v_add_co_u32_e32 v9, vcc, 0x200, v9
	v_addc_co_u32_e32 v10, vcc, 0, v10, vcc
	s_add_u32 s30, s30, 1
	v_add_co_u32_e32 v7, vcc, 0x800, v7
	s_addc_u32 s31, s31, 0
	v_mov_b32_e32 v11, s30
	v_addc_co_u32_e32 v8, vcc, 0, v8, vcc
	v_mov_b32_e32 v12, s31
	v_add_co_u32_e32 v5, vcc, 0x100, v5
	v_cmp_le_u64_e64 s[4:5], s[48:49], v[11:12]
	v_addc_co_u32_e32 v6, vcc, 0, v6, vcc
	s_and_b64 vcc, exec, s[4:5]
	s_cbranch_vccnz .LBB72_87
.LBB72_43:                              ; =>This Inner Loop Header: Depth=1
	v_cmp_gt_i64_e32 vcc, s[28:29], v[5:6]
	v_mov_b32_e32 v1, -1
	v_mov_b32_e32 v2, -1
	v_mov_b32_e32 v18, 0
	s_and_saveexec_b64 s[4:5], vcc
	s_cbranch_execz .LBB72_45
; %bb.44:                               ;   in Loop: Header=BB72_43 Depth=1
	global_load_dwordx2 v[1:2], v[3:4], off glc slc
	global_load_dwordx2 v[11:12], v[7:8], off glc slc
	global_load_ushort v18, v[9:10], off
	v_mov_b32_e32 v29, s35
	s_waitcnt vmcnt(2)
	v_lshlrev_b64 v[1:2], 1, v[1:2]
	v_add_co_u32_e32 v1, vcc, s33, v1
	v_addc_co_u32_e32 v2, vcc, v29, v2, vcc
	global_load_ushort v29, v[1:2], off
	s_waitcnt vmcnt(2)
	v_subrev_co_u32_e32 v1, vcc, s44, v11
	v_subbrev_co_u32_e32 v2, vcc, 0, v12, vcc
	s_waitcnt vmcnt(1)
	v_lshlrev_b32_e32 v11, 16, v18
	s_waitcnt vmcnt(0)
	v_lshlrev_b32_e32 v12, 16, v29
	v_mul_f32_e32 v18, v11, v12
.LBB72_45:                              ;   in Loop: Header=BB72_43 Depth=1
	s_or_b64 exec, exec, s[4:5]
	s_and_saveexec_b64 s[4:5], s[0:1]
	s_cbranch_execz .LBB72_52
; %bb.46:                               ;   in Loop: Header=BB72_43 Depth=1
	ds_read_b64 v[11:12], v28 offset:2040
	s_waitcnt lgkmcnt(0)
	v_cmp_ne_u64_e32 vcc, v[1:2], v[11:12]
	s_and_saveexec_b64 s[36:37], vcc
	s_xor_b64 s[36:37], exec, s[36:37]
	s_cbranch_execz .LBB72_49
; %bb.47:                               ;   in Loop: Header=BB72_43 Depth=1
	v_cmp_gt_i64_e32 vcc, 0, v[11:12]
	s_cbranch_vccnz .LBB72_49
; %bb.48:                               ;   in Loop: Header=BB72_43 Depth=1
	v_lshlrev_b64 v[11:12], 2, v[11:12]
	v_mov_b32_e32 v29, s47
	v_add_co_u32_e32 v11, vcc, s46, v11
	v_addc_co_u32_e32 v12, vcc, v29, v12, vcc
	global_load_dword v29, v[11:12], off
	ds_read_b32 v30, v28 offset:3068
	s_waitcnt vmcnt(0) lgkmcnt(0)
	v_fmac_f32_e32 v29, s34, v30
	global_store_dword v[11:12], v29, off
.LBB72_49:                              ;   in Loop: Header=BB72_43 Depth=1
	s_andn2_saveexec_b64 s[36:37], s[36:37]
	s_cbranch_execz .LBB72_51
; %bb.50:                               ;   in Loop: Header=BB72_43 Depth=1
	ds_read_b32 v11, v28 offset:3068
	s_waitcnt lgkmcnt(0)
	v_add_f32_e32 v18, v18, v11
.LBB72_51:                              ;   in Loop: Header=BB72_43 Depth=1
	s_or_b64 exec, exec, s[36:37]
.LBB72_52:                              ;   in Loop: Header=BB72_43 Depth=1
	s_or_b64 exec, exec, s[4:5]
	s_waitcnt vmcnt(0) lgkmcnt(0)
	s_barrier
	ds_write_b64 v13, v[1:2]
	ds_write_b32 v14, v18
	s_waitcnt lgkmcnt(0)
	s_barrier
	s_and_saveexec_b64 s[4:5], s[2:3]
	s_cbranch_execz .LBB72_56
; %bb.53:                               ;   in Loop: Header=BB72_43 Depth=1
	ds_read_b64 v[11:12], v15
	s_waitcnt lgkmcnt(0)
	v_cmp_eq_u64_e32 vcc, v[1:2], v[11:12]
	s_and_saveexec_b64 s[36:37], vcc
	s_cbranch_execz .LBB72_55
; %bb.54:                               ;   in Loop: Header=BB72_43 Depth=1
	v_add_u32_e32 v11, -4, v14
	ds_read_b32 v11, v11
	s_waitcnt lgkmcnt(0)
	v_add_f32_e32 v18, v18, v11
.LBB72_55:                              ;   in Loop: Header=BB72_43 Depth=1
	s_or_b64 exec, exec, s[36:37]
.LBB72_56:                              ;   in Loop: Header=BB72_43 Depth=1
	s_or_b64 exec, exec, s[4:5]
	s_barrier
	ds_write_b32 v14, v18
	s_waitcnt lgkmcnt(0)
	s_barrier
	s_and_saveexec_b64 s[4:5], s[22:23]
	s_cbranch_execz .LBB72_60
; %bb.57:                               ;   in Loop: Header=BB72_43 Depth=1
	ds_read_b64 v[11:12], v16
	s_waitcnt lgkmcnt(0)
	v_cmp_eq_u64_e32 vcc, v[1:2], v[11:12]
	s_and_saveexec_b64 s[36:37], vcc
	s_cbranch_execz .LBB72_59
; %bb.58:                               ;   in Loop: Header=BB72_43 Depth=1
	v_add_u32_e32 v11, -8, v14
	ds_read_b32 v11, v11
	s_waitcnt lgkmcnt(0)
	v_add_f32_e32 v18, v18, v11
.LBB72_59:                              ;   in Loop: Header=BB72_43 Depth=1
	s_or_b64 exec, exec, s[36:37]
.LBB72_60:                              ;   in Loop: Header=BB72_43 Depth=1
	s_or_b64 exec, exec, s[4:5]
	s_barrier
	;; [unrolled: 21-line block ×3, first 2 shown]
	ds_write_b32 v14, v18
	s_waitcnt lgkmcnt(0)
	s_barrier
	s_and_saveexec_b64 s[4:5], s[10:11]
	s_cbranch_execz .LBB72_68
; %bb.65:                               ;   in Loop: Header=BB72_43 Depth=1
	ds_read_b64 v[11:12], v19
	s_waitcnt lgkmcnt(0)
	v_cmp_eq_u64_e32 vcc, v[1:2], v[11:12]
	s_and_saveexec_b64 s[36:37], vcc
	s_cbranch_execz .LBB72_67
; %bb.66:                               ;   in Loop: Header=BB72_43 Depth=1
	v_subrev_u32_e32 v11, 32, v14
	ds_read_b32 v11, v11
	s_waitcnt lgkmcnt(0)
	v_add_f32_e32 v18, v18, v11
.LBB72_67:                              ;   in Loop: Header=BB72_43 Depth=1
	s_or_b64 exec, exec, s[36:37]
.LBB72_68:                              ;   in Loop: Header=BB72_43 Depth=1
	s_or_b64 exec, exec, s[4:5]
	s_barrier
	ds_write_b32 v14, v18
	s_waitcnt lgkmcnt(0)
	s_barrier
	s_and_saveexec_b64 s[4:5], s[12:13]
	s_cbranch_execz .LBB72_72
; %bb.69:                               ;   in Loop: Header=BB72_43 Depth=1
	ds_read_b64 v[11:12], v20
	s_waitcnt lgkmcnt(0)
	v_cmp_eq_u64_e32 vcc, v[1:2], v[11:12]
	s_and_saveexec_b64 s[36:37], vcc
	s_cbranch_execz .LBB72_71
; %bb.70:                               ;   in Loop: Header=BB72_43 Depth=1
	ds_read_b32 v11, v21
	s_waitcnt lgkmcnt(0)
	v_add_f32_e32 v18, v18, v11
.LBB72_71:                              ;   in Loop: Header=BB72_43 Depth=1
	s_or_b64 exec, exec, s[36:37]
.LBB72_72:                              ;   in Loop: Header=BB72_43 Depth=1
	s_or_b64 exec, exec, s[4:5]
	s_barrier
	ds_write_b32 v14, v18
	s_waitcnt lgkmcnt(0)
	s_barrier
	s_and_saveexec_b64 s[4:5], s[14:15]
	s_cbranch_execz .LBB72_76
; %bb.73:                               ;   in Loop: Header=BB72_43 Depth=1
	ds_read_b64 v[11:12], v22
	s_waitcnt lgkmcnt(0)
	v_cmp_eq_u64_e32 vcc, v[1:2], v[11:12]
	s_and_saveexec_b64 s[36:37], vcc
	s_cbranch_execz .LBB72_75
; %bb.74:                               ;   in Loop: Header=BB72_43 Depth=1
	ds_read_b32 v11, v23
	s_waitcnt lgkmcnt(0)
	v_add_f32_e32 v18, v18, v11
.LBB72_75:                              ;   in Loop: Header=BB72_43 Depth=1
	s_or_b64 exec, exec, s[36:37]
.LBB72_76:                              ;   in Loop: Header=BB72_43 Depth=1
	;; [unrolled: 20-line block ×4, first 2 shown]
	s_or_b64 exec, exec, s[4:5]
	s_barrier
	ds_write_b32 v14, v18
	s_waitcnt lgkmcnt(0)
	s_barrier
	s_and_saveexec_b64 s[36:37], s[20:21]
	s_cbranch_execz .LBB72_42
; %bb.85:                               ;   in Loop: Header=BB72_43 Depth=1
	ds_read_b64 v[11:12], v13 offset:8
	v_cmp_lt_i64_e64 s[4:5], -1, v[1:2]
	s_waitcnt lgkmcnt(0)
	v_cmp_ne_u64_e32 vcc, v[1:2], v[11:12]
	s_and_b64 s[4:5], s[4:5], vcc
	s_and_b64 exec, exec, s[4:5]
	s_cbranch_execz .LBB72_42
; %bb.86:                               ;   in Loop: Header=BB72_43 Depth=1
	v_lshlrev_b64 v[11:12], 2, v[1:2]
	v_mov_b32_e32 v29, s47
	v_add_co_u32_e32 v11, vcc, s46, v11
	v_addc_co_u32_e32 v12, vcc, v29, v12, vcc
	global_load_dword v29, v[11:12], off
	s_waitcnt vmcnt(0)
	v_fmac_f32_e32 v29, s34, v18
	global_store_dword v[11:12], v29, off
	s_branch .LBB72_42
.LBB72_87:
	s_movk_i32 s0, 0xff
	v_cmp_eq_u32_e32 vcc, s0, v0
	s_and_saveexec_b64 s[0:1], vcc
	s_cbranch_execz .LBB72_89
; %bb.88:
	s_lshl_b64 s[0:1], s[6:7], 3
	s_waitcnt lgkmcnt(0)
	s_add_u32 s0, s24, s0
	s_addc_u32 s1, s25, s1
	s_lshl_b64 s[2:3], s[6:7], 2
	v_mov_b32_e32 v0, 0
	s_add_u32 s2, s26, s2
	v_mul_f32_e32 v3, s34, v18
	s_addc_u32 s3, s27, s3
	global_store_dwordx2 v0, v[1:2], s[0:1] glc slc
	global_store_dword v0, v3, s[2:3] glc slc
.LBB72_89:
	s_endpgm
	.section	.rodata,"a",@progbits
	.p2align	6, 0x0
	.amdhsa_kernel _ZN9rocsparseL22coomvn_segmented_loopsILj256El18rocsparse_bfloat16S1_ffEEvlT0_NS_24const_host_device_scalarIT4_EEPKS2_S7_PKT1_PKT2_PT3_PS2_PS4_21rocsparse_index_base_b
		.amdhsa_group_segment_fixed_size 3072
		.amdhsa_private_segment_fixed_size 0
		.amdhsa_kernarg_size 88
		.amdhsa_user_sgpr_count 6
		.amdhsa_user_sgpr_private_segment_buffer 1
		.amdhsa_user_sgpr_dispatch_ptr 0
		.amdhsa_user_sgpr_queue_ptr 0
		.amdhsa_user_sgpr_kernarg_segment_ptr 1
		.amdhsa_user_sgpr_dispatch_id 0
		.amdhsa_user_sgpr_flat_scratch_init 0
		.amdhsa_user_sgpr_private_segment_size 0
		.amdhsa_uses_dynamic_stack 0
		.amdhsa_system_sgpr_private_segment_wavefront_offset 0
		.amdhsa_system_sgpr_workgroup_id_x 1
		.amdhsa_system_sgpr_workgroup_id_y 0
		.amdhsa_system_sgpr_workgroup_id_z 0
		.amdhsa_system_sgpr_workgroup_info 0
		.amdhsa_system_vgpr_workitem_id 0
		.amdhsa_next_free_vgpr 31
		.amdhsa_next_free_sgpr 50
		.amdhsa_reserve_vcc 1
		.amdhsa_reserve_flat_scratch 0
		.amdhsa_float_round_mode_32 0
		.amdhsa_float_round_mode_16_64 0
		.amdhsa_float_denorm_mode_32 3
		.amdhsa_float_denorm_mode_16_64 3
		.amdhsa_dx10_clamp 1
		.amdhsa_ieee_mode 1
		.amdhsa_fp16_overflow 0
		.amdhsa_exception_fp_ieee_invalid_op 0
		.amdhsa_exception_fp_denorm_src 0
		.amdhsa_exception_fp_ieee_div_zero 0
		.amdhsa_exception_fp_ieee_overflow 0
		.amdhsa_exception_fp_ieee_underflow 0
		.amdhsa_exception_fp_ieee_inexact 0
		.amdhsa_exception_int_div_zero 0
	.end_amdhsa_kernel
	.section	.text._ZN9rocsparseL22coomvn_segmented_loopsILj256El18rocsparse_bfloat16S1_ffEEvlT0_NS_24const_host_device_scalarIT4_EEPKS2_S7_PKT1_PKT2_PT3_PS2_PS4_21rocsparse_index_base_b,"axG",@progbits,_ZN9rocsparseL22coomvn_segmented_loopsILj256El18rocsparse_bfloat16S1_ffEEvlT0_NS_24const_host_device_scalarIT4_EEPKS2_S7_PKT1_PKT2_PT3_PS2_PS4_21rocsparse_index_base_b,comdat
.Lfunc_end72:
	.size	_ZN9rocsparseL22coomvn_segmented_loopsILj256El18rocsparse_bfloat16S1_ffEEvlT0_NS_24const_host_device_scalarIT4_EEPKS2_S7_PKT1_PKT2_PT3_PS2_PS4_21rocsparse_index_base_b, .Lfunc_end72-_ZN9rocsparseL22coomvn_segmented_loopsILj256El18rocsparse_bfloat16S1_ffEEvlT0_NS_24const_host_device_scalarIT4_EEPKS2_S7_PKT1_PKT2_PT3_PS2_PS4_21rocsparse_index_base_b
                                        ; -- End function
	.set _ZN9rocsparseL22coomvn_segmented_loopsILj256El18rocsparse_bfloat16S1_ffEEvlT0_NS_24const_host_device_scalarIT4_EEPKS2_S7_PKT1_PKT2_PT3_PS2_PS4_21rocsparse_index_base_b.num_vgpr, 31
	.set _ZN9rocsparseL22coomvn_segmented_loopsILj256El18rocsparse_bfloat16S1_ffEEvlT0_NS_24const_host_device_scalarIT4_EEPKS2_S7_PKT1_PKT2_PT3_PS2_PS4_21rocsparse_index_base_b.num_agpr, 0
	.set _ZN9rocsparseL22coomvn_segmented_loopsILj256El18rocsparse_bfloat16S1_ffEEvlT0_NS_24const_host_device_scalarIT4_EEPKS2_S7_PKT1_PKT2_PT3_PS2_PS4_21rocsparse_index_base_b.numbered_sgpr, 50
	.set _ZN9rocsparseL22coomvn_segmented_loopsILj256El18rocsparse_bfloat16S1_ffEEvlT0_NS_24const_host_device_scalarIT4_EEPKS2_S7_PKT1_PKT2_PT3_PS2_PS4_21rocsparse_index_base_b.num_named_barrier, 0
	.set _ZN9rocsparseL22coomvn_segmented_loopsILj256El18rocsparse_bfloat16S1_ffEEvlT0_NS_24const_host_device_scalarIT4_EEPKS2_S7_PKT1_PKT2_PT3_PS2_PS4_21rocsparse_index_base_b.private_seg_size, 0
	.set _ZN9rocsparseL22coomvn_segmented_loopsILj256El18rocsparse_bfloat16S1_ffEEvlT0_NS_24const_host_device_scalarIT4_EEPKS2_S7_PKT1_PKT2_PT3_PS2_PS4_21rocsparse_index_base_b.uses_vcc, 1
	.set _ZN9rocsparseL22coomvn_segmented_loopsILj256El18rocsparse_bfloat16S1_ffEEvlT0_NS_24const_host_device_scalarIT4_EEPKS2_S7_PKT1_PKT2_PT3_PS2_PS4_21rocsparse_index_base_b.uses_flat_scratch, 0
	.set _ZN9rocsparseL22coomvn_segmented_loopsILj256El18rocsparse_bfloat16S1_ffEEvlT0_NS_24const_host_device_scalarIT4_EEPKS2_S7_PKT1_PKT2_PT3_PS2_PS4_21rocsparse_index_base_b.has_dyn_sized_stack, 0
	.set _ZN9rocsparseL22coomvn_segmented_loopsILj256El18rocsparse_bfloat16S1_ffEEvlT0_NS_24const_host_device_scalarIT4_EEPKS2_S7_PKT1_PKT2_PT3_PS2_PS4_21rocsparse_index_base_b.has_recursion, 0
	.set _ZN9rocsparseL22coomvn_segmented_loopsILj256El18rocsparse_bfloat16S1_ffEEvlT0_NS_24const_host_device_scalarIT4_EEPKS2_S7_PKT1_PKT2_PT3_PS2_PS4_21rocsparse_index_base_b.has_indirect_call, 0
	.section	.AMDGPU.csdata,"",@progbits
; Kernel info:
; codeLenInByte = 2624
; TotalNumSgprs: 54
; NumVgprs: 31
; ScratchSize: 0
; MemoryBound: 0
; FloatMode: 240
; IeeeMode: 1
; LDSByteSize: 3072 bytes/workgroup (compile time only)
; SGPRBlocks: 6
; VGPRBlocks: 7
; NumSGPRsForWavesPerEU: 54
; NumVGPRsForWavesPerEU: 31
; Occupancy: 8
; WaveLimiterHint : 1
; COMPUTE_PGM_RSRC2:SCRATCH_EN: 0
; COMPUTE_PGM_RSRC2:USER_SGPR: 6
; COMPUTE_PGM_RSRC2:TRAP_HANDLER: 0
; COMPUTE_PGM_RSRC2:TGID_X_EN: 1
; COMPUTE_PGM_RSRC2:TGID_Y_EN: 0
; COMPUTE_PGM_RSRC2:TGID_Z_EN: 0
; COMPUTE_PGM_RSRC2:TIDIG_COMP_CNT: 0
	.section	.text._ZN9rocsparseL13coomvt_kernelILj1024El18rocsparse_bfloat16S1_ffEEv20rocsparse_operation_lNS_24const_host_device_scalarIT4_EEPKT0_S8_PKT1_PKT2_PT3_21rocsparse_index_base_b,"axG",@progbits,_ZN9rocsparseL13coomvt_kernelILj1024El18rocsparse_bfloat16S1_ffEEv20rocsparse_operation_lNS_24const_host_device_scalarIT4_EEPKT0_S8_PKT1_PKT2_PT3_21rocsparse_index_base_b,comdat
	.globl	_ZN9rocsparseL13coomvt_kernelILj1024El18rocsparse_bfloat16S1_ffEEv20rocsparse_operation_lNS_24const_host_device_scalarIT4_EEPKT0_S8_PKT1_PKT2_PT3_21rocsparse_index_base_b ; -- Begin function _ZN9rocsparseL13coomvt_kernelILj1024El18rocsparse_bfloat16S1_ffEEv20rocsparse_operation_lNS_24const_host_device_scalarIT4_EEPKT0_S8_PKT1_PKT2_PT3_21rocsparse_index_base_b
	.p2align	8
	.type	_ZN9rocsparseL13coomvt_kernelILj1024El18rocsparse_bfloat16S1_ffEEv20rocsparse_operation_lNS_24const_host_device_scalarIT4_EEPKT0_S8_PKT1_PKT2_PT3_21rocsparse_index_base_b,@function
_ZN9rocsparseL13coomvt_kernelILj1024El18rocsparse_bfloat16S1_ffEEv20rocsparse_operation_lNS_24const_host_device_scalarIT4_EEPKT0_S8_PKT1_PKT2_PT3_21rocsparse_index_base_b: ; @_ZN9rocsparseL13coomvt_kernelILj1024El18rocsparse_bfloat16S1_ffEEv20rocsparse_operation_lNS_24const_host_device_scalarIT4_EEPKT0_S8_PKT1_PKT2_PT3_21rocsparse_index_base_b
; %bb.0:
	s_load_dwordx2 s[16:17], s[4:5], 0x40
	s_load_dwordx4 s[0:3], s[4:5], 0x8
	s_waitcnt lgkmcnt(0)
	s_bitcmp1_b32 s17, 0
	s_cselect_b64 s[8:9], -1, 0
	s_and_b64 vcc, exec, s[8:9]
	s_cbranch_vccnz .LBB73_2
; %bb.1:
	s_load_dword s2, s[2:3], 0x0
.LBB73_2:
	s_waitcnt lgkmcnt(0)
	v_cmp_eq_f32_e64 s[8:9], s2, 0
	s_and_b64 vcc, exec, s[8:9]
	s_cbranch_vccnz .LBB73_6
; %bb.3:
	s_load_dword s3, s[4:5], 0x54
	v_mov_b32_e32 v1, 0
	s_waitcnt lgkmcnt(0)
	s_and_b32 s3, s3, 0xffff
	s_mul_i32 s6, s6, s3
	v_add_u32_e32 v0, s6, v0
	v_cmp_gt_i64_e32 vcc, s[0:1], v[0:1]
	s_and_saveexec_b64 s[0:1], vcc
	s_cbranch_execz .LBB73_6
; %bb.4:
	s_load_dwordx8 s[8:15], s[4:5], 0x18
	v_lshlrev_b64 v[2:3], 3, v[0:1]
	v_lshlrev_b64 v[0:1], 1, v[0:1]
	s_load_dwordx2 s[0:1], s[4:5], 0x38
	s_waitcnt lgkmcnt(0)
	v_mov_b32_e32 v5, s9
	v_add_co_u32_e32 v4, vcc, s8, v2
	v_addc_co_u32_e32 v5, vcc, v5, v3, vcc
	global_load_dwordx2 v[4:5], v[4:5], off
	v_mov_b32_e32 v6, s11
	v_add_co_u32_e32 v2, vcc, s10, v2
	v_addc_co_u32_e32 v3, vcc, v6, v3, vcc
	global_load_dwordx2 v[2:3], v[2:3], off
	v_mov_b32_e32 v6, s13
	v_add_co_u32_e32 v0, vcc, s12, v0
	v_addc_co_u32_e32 v1, vcc, v6, v1, vcc
	global_load_ushort v6, v[0:1], off
	v_mov_b32_e32 v8, s15
	v_mov_b32_e32 v7, s1
	s_waitcnt vmcnt(2)
	v_subrev_co_u32_e32 v0, vcc, s16, v4
	v_subbrev_co_u32_e32 v1, vcc, 0, v5, vcc
	v_lshlrev_b64 v[0:1], 1, v[0:1]
	s_waitcnt vmcnt(1)
	v_subrev_co_u32_e32 v2, vcc, s16, v2
	v_subbrev_co_u32_e32 v3, vcc, 0, v3, vcc
	v_lshlrev_b64 v[2:3], 2, v[2:3]
	v_add_co_u32_e32 v0, vcc, s14, v0
	v_addc_co_u32_e32 v1, vcc, v8, v1, vcc
	global_load_ushort v4, v[0:1], off
	v_add_co_u32_e32 v0, vcc, s0, v2
	v_addc_co_u32_e32 v1, vcc, v7, v3, vcc
	global_load_dword v3, v[0:1], off
	s_waitcnt vmcnt(2)
	v_lshlrev_b32_e32 v2, 16, v6
	v_mul_f32_e32 v2, s2, v2
	s_mov_b64 s[0:1], 0
	s_waitcnt vmcnt(1)
	v_lshlrev_b32_e32 v4, 16, v4
	v_mul_f32_e32 v4, v2, v4
.LBB73_5:                               ; =>This Inner Loop Header: Depth=1
	s_waitcnt vmcnt(0)
	v_add_f32_e32 v2, v3, v4
	global_atomic_cmpswap v2, v[0:1], v[2:3], off glc
	s_waitcnt vmcnt(0)
	v_cmp_eq_u32_e32 vcc, v2, v3
	s_or_b64 s[0:1], vcc, s[0:1]
	v_mov_b32_e32 v3, v2
	s_andn2_b64 exec, exec, s[0:1]
	s_cbranch_execnz .LBB73_5
.LBB73_6:
	s_endpgm
	.section	.rodata,"a",@progbits
	.p2align	6, 0x0
	.amdhsa_kernel _ZN9rocsparseL13coomvt_kernelILj1024El18rocsparse_bfloat16S1_ffEEv20rocsparse_operation_lNS_24const_host_device_scalarIT4_EEPKT0_S8_PKT1_PKT2_PT3_21rocsparse_index_base_b
		.amdhsa_group_segment_fixed_size 0
		.amdhsa_private_segment_fixed_size 0
		.amdhsa_kernarg_size 328
		.amdhsa_user_sgpr_count 6
		.amdhsa_user_sgpr_private_segment_buffer 1
		.amdhsa_user_sgpr_dispatch_ptr 0
		.amdhsa_user_sgpr_queue_ptr 0
		.amdhsa_user_sgpr_kernarg_segment_ptr 1
		.amdhsa_user_sgpr_dispatch_id 0
		.amdhsa_user_sgpr_flat_scratch_init 0
		.amdhsa_user_sgpr_private_segment_size 0
		.amdhsa_uses_dynamic_stack 0
		.amdhsa_system_sgpr_private_segment_wavefront_offset 0
		.amdhsa_system_sgpr_workgroup_id_x 1
		.amdhsa_system_sgpr_workgroup_id_y 0
		.amdhsa_system_sgpr_workgroup_id_z 0
		.amdhsa_system_sgpr_workgroup_info 0
		.amdhsa_system_vgpr_workitem_id 0
		.amdhsa_next_free_vgpr 9
		.amdhsa_next_free_sgpr 18
		.amdhsa_reserve_vcc 1
		.amdhsa_reserve_flat_scratch 0
		.amdhsa_float_round_mode_32 0
		.amdhsa_float_round_mode_16_64 0
		.amdhsa_float_denorm_mode_32 3
		.amdhsa_float_denorm_mode_16_64 3
		.amdhsa_dx10_clamp 1
		.amdhsa_ieee_mode 1
		.amdhsa_fp16_overflow 0
		.amdhsa_exception_fp_ieee_invalid_op 0
		.amdhsa_exception_fp_denorm_src 0
		.amdhsa_exception_fp_ieee_div_zero 0
		.amdhsa_exception_fp_ieee_overflow 0
		.amdhsa_exception_fp_ieee_underflow 0
		.amdhsa_exception_fp_ieee_inexact 0
		.amdhsa_exception_int_div_zero 0
	.end_amdhsa_kernel
	.section	.text._ZN9rocsparseL13coomvt_kernelILj1024El18rocsparse_bfloat16S1_ffEEv20rocsparse_operation_lNS_24const_host_device_scalarIT4_EEPKT0_S8_PKT1_PKT2_PT3_21rocsparse_index_base_b,"axG",@progbits,_ZN9rocsparseL13coomvt_kernelILj1024El18rocsparse_bfloat16S1_ffEEv20rocsparse_operation_lNS_24const_host_device_scalarIT4_EEPKT0_S8_PKT1_PKT2_PT3_21rocsparse_index_base_b,comdat
.Lfunc_end73:
	.size	_ZN9rocsparseL13coomvt_kernelILj1024El18rocsparse_bfloat16S1_ffEEv20rocsparse_operation_lNS_24const_host_device_scalarIT4_EEPKT0_S8_PKT1_PKT2_PT3_21rocsparse_index_base_b, .Lfunc_end73-_ZN9rocsparseL13coomvt_kernelILj1024El18rocsparse_bfloat16S1_ffEEv20rocsparse_operation_lNS_24const_host_device_scalarIT4_EEPKT0_S8_PKT1_PKT2_PT3_21rocsparse_index_base_b
                                        ; -- End function
	.set _ZN9rocsparseL13coomvt_kernelILj1024El18rocsparse_bfloat16S1_ffEEv20rocsparse_operation_lNS_24const_host_device_scalarIT4_EEPKT0_S8_PKT1_PKT2_PT3_21rocsparse_index_base_b.num_vgpr, 9
	.set _ZN9rocsparseL13coomvt_kernelILj1024El18rocsparse_bfloat16S1_ffEEv20rocsparse_operation_lNS_24const_host_device_scalarIT4_EEPKT0_S8_PKT1_PKT2_PT3_21rocsparse_index_base_b.num_agpr, 0
	.set _ZN9rocsparseL13coomvt_kernelILj1024El18rocsparse_bfloat16S1_ffEEv20rocsparse_operation_lNS_24const_host_device_scalarIT4_EEPKT0_S8_PKT1_PKT2_PT3_21rocsparse_index_base_b.numbered_sgpr, 18
	.set _ZN9rocsparseL13coomvt_kernelILj1024El18rocsparse_bfloat16S1_ffEEv20rocsparse_operation_lNS_24const_host_device_scalarIT4_EEPKT0_S8_PKT1_PKT2_PT3_21rocsparse_index_base_b.num_named_barrier, 0
	.set _ZN9rocsparseL13coomvt_kernelILj1024El18rocsparse_bfloat16S1_ffEEv20rocsparse_operation_lNS_24const_host_device_scalarIT4_EEPKT0_S8_PKT1_PKT2_PT3_21rocsparse_index_base_b.private_seg_size, 0
	.set _ZN9rocsparseL13coomvt_kernelILj1024El18rocsparse_bfloat16S1_ffEEv20rocsparse_operation_lNS_24const_host_device_scalarIT4_EEPKT0_S8_PKT1_PKT2_PT3_21rocsparse_index_base_b.uses_vcc, 1
	.set _ZN9rocsparseL13coomvt_kernelILj1024El18rocsparse_bfloat16S1_ffEEv20rocsparse_operation_lNS_24const_host_device_scalarIT4_EEPKT0_S8_PKT1_PKT2_PT3_21rocsparse_index_base_b.uses_flat_scratch, 0
	.set _ZN9rocsparseL13coomvt_kernelILj1024El18rocsparse_bfloat16S1_ffEEv20rocsparse_operation_lNS_24const_host_device_scalarIT4_EEPKT0_S8_PKT1_PKT2_PT3_21rocsparse_index_base_b.has_dyn_sized_stack, 0
	.set _ZN9rocsparseL13coomvt_kernelILj1024El18rocsparse_bfloat16S1_ffEEv20rocsparse_operation_lNS_24const_host_device_scalarIT4_EEPKT0_S8_PKT1_PKT2_PT3_21rocsparse_index_base_b.has_recursion, 0
	.set _ZN9rocsparseL13coomvt_kernelILj1024El18rocsparse_bfloat16S1_ffEEv20rocsparse_operation_lNS_24const_host_device_scalarIT4_EEPKT0_S8_PKT1_PKT2_PT3_21rocsparse_index_base_b.has_indirect_call, 0
	.section	.AMDGPU.csdata,"",@progbits
; Kernel info:
; codeLenInByte = 356
; TotalNumSgprs: 22
; NumVgprs: 9
; ScratchSize: 0
; MemoryBound: 0
; FloatMode: 240
; IeeeMode: 1
; LDSByteSize: 0 bytes/workgroup (compile time only)
; SGPRBlocks: 2
; VGPRBlocks: 2
; NumSGPRsForWavesPerEU: 22
; NumVGPRsForWavesPerEU: 9
; Occupancy: 10
; WaveLimiterHint : 1
; COMPUTE_PGM_RSRC2:SCRATCH_EN: 0
; COMPUTE_PGM_RSRC2:USER_SGPR: 6
; COMPUTE_PGM_RSRC2:TRAP_HANDLER: 0
; COMPUTE_PGM_RSRC2:TGID_X_EN: 1
; COMPUTE_PGM_RSRC2:TGID_Y_EN: 0
; COMPUTE_PGM_RSRC2:TGID_Z_EN: 0
; COMPUTE_PGM_RSRC2:TIDIG_COMP_CNT: 0
	.section	.text._ZN9rocsparseL19coomvn_atomic_loopsILj256ELj1El18rocsparse_bfloat16S1_ffEEvlNS_24const_host_device_scalarIT5_EEPKT1_S7_PKT2_PKT3_PT4_21rocsparse_index_base_b,"axG",@progbits,_ZN9rocsparseL19coomvn_atomic_loopsILj256ELj1El18rocsparse_bfloat16S1_ffEEvlNS_24const_host_device_scalarIT5_EEPKT1_S7_PKT2_PKT3_PT4_21rocsparse_index_base_b,comdat
	.globl	_ZN9rocsparseL19coomvn_atomic_loopsILj256ELj1El18rocsparse_bfloat16S1_ffEEvlNS_24const_host_device_scalarIT5_EEPKT1_S7_PKT2_PKT3_PT4_21rocsparse_index_base_b ; -- Begin function _ZN9rocsparseL19coomvn_atomic_loopsILj256ELj1El18rocsparse_bfloat16S1_ffEEvlNS_24const_host_device_scalarIT5_EEPKT1_S7_PKT2_PKT3_PT4_21rocsparse_index_base_b
	.p2align	8
	.type	_ZN9rocsparseL19coomvn_atomic_loopsILj256ELj1El18rocsparse_bfloat16S1_ffEEvlNS_24const_host_device_scalarIT5_EEPKT1_S7_PKT2_PKT3_PT4_21rocsparse_index_base_b,@function
_ZN9rocsparseL19coomvn_atomic_loopsILj256ELj1El18rocsparse_bfloat16S1_ffEEvlNS_24const_host_device_scalarIT5_EEPKT1_S7_PKT2_PKT3_PT4_21rocsparse_index_base_b: ; @_ZN9rocsparseL19coomvn_atomic_loopsILj256ELj1El18rocsparse_bfloat16S1_ffEEvlNS_24const_host_device_scalarIT5_EEPKT1_S7_PKT2_PKT3_PT4_21rocsparse_index_base_b
; %bb.0:
	s_load_dwordx2 s[16:17], s[4:5], 0x38
	s_load_dwordx4 s[0:3], s[4:5], 0x0
	s_waitcnt lgkmcnt(0)
	s_bitcmp1_b32 s17, 0
	s_cselect_b64 s[8:9], -1, 0
	s_and_b64 vcc, exec, s[8:9]
	s_cbranch_vccnz .LBB74_2
; %bb.1:
	s_load_dword s2, s[2:3], 0x0
.LBB74_2:
	s_waitcnt lgkmcnt(0)
	v_cmp_eq_f32_e64 s[8:9], s2, 0
	s_and_b64 vcc, exec, s[8:9]
	s_cbranch_vccnz .LBB74_44
; %bb.3:
	v_lshl_or_b32 v1, s6, 8, v0
	v_mov_b32_e32 v2, 0
	v_cmp_gt_i64_e32 vcc, s[0:1], v[1:2]
	v_mov_b32_e32 v3, -1
	v_mov_b32_e32 v4, -1
	s_and_saveexec_b64 s[0:1], vcc
	s_cbranch_execz .LBB74_5
; %bb.4:
	s_load_dwordx8 s[8:15], s[4:5], 0x10
	v_lshlrev_b64 v[3:4], 3, v[1:2]
	v_lshlrev_b64 v[1:2], 1, v[1:2]
	s_waitcnt lgkmcnt(0)
	v_mov_b32_e32 v6, s11
	v_add_co_u32_e32 v5, vcc, s10, v3
	v_addc_co_u32_e32 v6, vcc, v6, v4, vcc
	global_load_dwordx2 v[5:6], v[5:6], off glc slc
	v_mov_b32_e32 v7, s9
	v_add_co_u32_e32 v3, vcc, s8, v3
	v_addc_co_u32_e32 v4, vcc, v7, v4, vcc
	v_mov_b32_e32 v8, s13
	v_add_co_u32_e32 v1, vcc, s12, v1
	v_addc_co_u32_e32 v2, vcc, v8, v2, vcc
	v_mov_b32_e32 v9, s15
	global_load_dwordx2 v[3:4], v[3:4], off glc slc
	s_waitcnt vmcnt(1)
	v_subrev_co_u32_e32 v5, vcc, s16, v5
	v_subbrev_co_u32_e32 v6, vcc, 0, v6, vcc
	v_lshlrev_b64 v[5:6], 1, v[5:6]
	v_add_co_u32_e32 v5, vcc, s14, v5
	v_addc_co_u32_e32 v6, vcc, v9, v6, vcc
	global_load_ushort v7, v[5:6], off
	global_load_ushort v8, v[1:2], off
	s_waitcnt vmcnt(2)
	v_subrev_co_u32_e32 v3, vcc, s16, v3
	v_subbrev_co_u32_e32 v4, vcc, 0, v4, vcc
	s_waitcnt vmcnt(1)
	v_lshlrev_b32_e32 v1, 16, v7
	s_waitcnt vmcnt(0)
	v_lshlrev_b32_e32 v2, 16, v8
	v_mul_f32_e32 v2, v2, v1
.LBB74_5:
	s_or_b64 exec, exec, s[0:1]
	v_lshlrev_b32_e32 v6, 2, v0
	v_lshlrev_b32_e32 v1, 3, v0
	v_or_b32_e32 v5, 0x800, v6
	v_cmp_ne_u32_e32 vcc, 0, v0
	ds_write_b64 v1, v[3:4]
	ds_write_b32 v6, v2 offset:2048
	s_waitcnt lgkmcnt(0)
	s_barrier
	s_and_saveexec_b64 s[0:1], vcc
	s_cbranch_execz .LBB74_9
; %bb.6:
	v_add_u32_e32 v6, -8, v1
	ds_read_b64 v[6:7], v6
	s_waitcnt lgkmcnt(0)
	v_cmp_eq_u64_e32 vcc, v[3:4], v[6:7]
	s_and_saveexec_b64 s[6:7], vcc
	s_cbranch_execz .LBB74_8
; %bb.7:
	v_add_u32_e32 v6, -4, v5
	ds_read_b32 v6, v6
	s_waitcnt lgkmcnt(0)
	v_add_f32_e32 v2, v2, v6
.LBB74_8:
	s_or_b64 exec, exec, s[6:7]
.LBB74_9:
	s_or_b64 exec, exec, s[0:1]
	v_cmp_lt_u32_e32 vcc, 1, v0
	s_barrier
	ds_write_b32 v5, v2
	s_waitcnt lgkmcnt(0)
	s_barrier
	s_and_saveexec_b64 s[0:1], vcc
	s_cbranch_execz .LBB74_13
; %bb.10:
	v_add_u32_e32 v6, -16, v1
	ds_read_b64 v[6:7], v6
	s_waitcnt lgkmcnt(0)
	v_cmp_eq_u64_e32 vcc, v[3:4], v[6:7]
	s_and_saveexec_b64 s[6:7], vcc
	s_cbranch_execz .LBB74_12
; %bb.11:
	v_add_u32_e32 v6, -8, v5
	ds_read_b32 v6, v6
	s_waitcnt lgkmcnt(0)
	v_add_f32_e32 v2, v2, v6
.LBB74_12:
	s_or_b64 exec, exec, s[6:7]
.LBB74_13:
	s_or_b64 exec, exec, s[0:1]
	v_cmp_lt_u32_e32 vcc, 3, v0
	s_barrier
	ds_write_b32 v5, v2
	s_waitcnt lgkmcnt(0)
	s_barrier
	s_and_saveexec_b64 s[0:1], vcc
	s_cbranch_execz .LBB74_17
; %bb.14:
	v_subrev_u32_e32 v6, 32, v1
	ds_read_b64 v[6:7], v6
	s_waitcnt lgkmcnt(0)
	v_cmp_eq_u64_e32 vcc, v[3:4], v[6:7]
	s_and_saveexec_b64 s[6:7], vcc
	s_cbranch_execz .LBB74_16
; %bb.15:
	v_add_u32_e32 v6, -16, v5
	ds_read_b32 v6, v6
	s_waitcnt lgkmcnt(0)
	v_add_f32_e32 v2, v2, v6
.LBB74_16:
	s_or_b64 exec, exec, s[6:7]
.LBB74_17:
	s_or_b64 exec, exec, s[0:1]
	v_cmp_lt_u32_e32 vcc, 7, v0
	s_barrier
	ds_write_b32 v5, v2
	s_waitcnt lgkmcnt(0)
	s_barrier
	s_and_saveexec_b64 s[0:1], vcc
	s_cbranch_execz .LBB74_21
; %bb.18:
	v_subrev_u32_e32 v6, 64, v1
	ds_read_b64 v[6:7], v6
	s_waitcnt lgkmcnt(0)
	v_cmp_eq_u64_e32 vcc, v[3:4], v[6:7]
	s_and_saveexec_b64 s[6:7], vcc
	s_cbranch_execz .LBB74_20
; %bb.19:
	v_subrev_u32_e32 v6, 32, v5
	ds_read_b32 v6, v6
	s_waitcnt lgkmcnt(0)
	v_add_f32_e32 v2, v2, v6
.LBB74_20:
	s_or_b64 exec, exec, s[6:7]
.LBB74_21:
	s_or_b64 exec, exec, s[0:1]
	v_cmp_lt_u32_e32 vcc, 15, v0
	s_barrier
	ds_write_b32 v5, v2
	s_waitcnt lgkmcnt(0)
	s_barrier
	s_and_saveexec_b64 s[0:1], vcc
	s_cbranch_execz .LBB74_25
; %bb.22:
	v_add_u32_e32 v6, 0xffffff80, v1
	ds_read_b64 v[6:7], v6
	s_waitcnt lgkmcnt(0)
	v_cmp_eq_u64_e32 vcc, v[3:4], v[6:7]
	s_and_saveexec_b64 s[6:7], vcc
	s_cbranch_execz .LBB74_24
; %bb.23:
	v_subrev_u32_e32 v6, 64, v5
	ds_read_b32 v6, v6
	s_waitcnt lgkmcnt(0)
	v_add_f32_e32 v2, v2, v6
.LBB74_24:
	s_or_b64 exec, exec, s[6:7]
.LBB74_25:
	s_or_b64 exec, exec, s[0:1]
	v_cmp_lt_u32_e32 vcc, 31, v0
	s_barrier
	ds_write_b32 v5, v2
	s_waitcnt lgkmcnt(0)
	s_barrier
	s_and_saveexec_b64 s[0:1], vcc
	s_cbranch_execz .LBB74_29
; %bb.26:
	v_add_u32_e32 v6, 0xffffff00, v1
	ds_read_b64 v[6:7], v6
	s_waitcnt lgkmcnt(0)
	v_cmp_eq_u64_e32 vcc, v[3:4], v[6:7]
	s_and_saveexec_b64 s[6:7], vcc
	s_cbranch_execz .LBB74_28
; %bb.27:
	v_add_u32_e32 v6, 0xffffff80, v5
	ds_read_b32 v6, v6
	s_waitcnt lgkmcnt(0)
	v_add_f32_e32 v2, v2, v6
.LBB74_28:
	s_or_b64 exec, exec, s[6:7]
.LBB74_29:
	s_or_b64 exec, exec, s[0:1]
	v_cmp_lt_u32_e32 vcc, 63, v0
	s_barrier
	ds_write_b32 v5, v2
	s_waitcnt lgkmcnt(0)
	s_barrier
	s_and_saveexec_b64 s[0:1], vcc
	s_cbranch_execz .LBB74_33
; %bb.30:
	v_add_u32_e32 v6, 0xfffffe00, v1
	ds_read_b64 v[6:7], v6
	s_waitcnt lgkmcnt(0)
	v_cmp_eq_u64_e32 vcc, v[3:4], v[6:7]
	s_and_saveexec_b64 s[6:7], vcc
	s_cbranch_execz .LBB74_32
; %bb.31:
	v_add_u32_e32 v6, 0xffffff00, v5
	ds_read_b32 v6, v6
	s_waitcnt lgkmcnt(0)
	v_add_f32_e32 v2, v2, v6
.LBB74_32:
	s_or_b64 exec, exec, s[6:7]
.LBB74_33:
	s_or_b64 exec, exec, s[0:1]
	s_load_dwordx2 s[4:5], s[4:5], 0x30
	s_movk_i32 s0, 0x7f
	v_cmp_lt_u32_e32 vcc, s0, v0
	s_waitcnt lgkmcnt(0)
	s_barrier
	ds_write_b32 v5, v2
	s_waitcnt lgkmcnt(0)
	s_barrier
	s_and_saveexec_b64 s[0:1], vcc
	s_cbranch_execz .LBB74_37
; %bb.34:
	v_add_u32_e32 v6, 0xfffffc00, v1
	ds_read_b64 v[6:7], v6
	s_waitcnt lgkmcnt(0)
	v_cmp_eq_u64_e32 vcc, v[3:4], v[6:7]
	s_and_saveexec_b64 s[6:7], vcc
	s_cbranch_execz .LBB74_36
; %bb.35:
	v_add_u32_e32 v6, 0xfffffe00, v5
	ds_read_b32 v6, v6
	s_waitcnt lgkmcnt(0)
	v_add_f32_e32 v2, v2, v6
.LBB74_36:
	s_or_b64 exec, exec, s[6:7]
.LBB74_37:
	s_or_b64 exec, exec, s[0:1]
	s_movk_i32 s3, 0xff
	v_cmp_gt_u32_e32 vcc, s3, v0
	s_barrier
	ds_write_b32 v5, v2
	s_waitcnt lgkmcnt(0)
	s_barrier
	s_and_saveexec_b64 s[6:7], vcc
	s_cbranch_execz .LBB74_41
; %bb.38:
	ds_read_b64 v[5:6], v1 offset:8
	v_cmp_lt_i64_e64 s[0:1], -1, v[3:4]
	s_waitcnt lgkmcnt(0)
	v_cmp_ne_u64_e32 vcc, v[3:4], v[5:6]
	s_and_b64 s[0:1], s[0:1], vcc
	s_and_b64 exec, exec, s[0:1]
	s_cbranch_execz .LBB74_41
; %bb.39:
	v_lshlrev_b64 v[5:6], 2, v[3:4]
	v_mov_b32_e32 v1, s5
	v_add_co_u32_e32 v5, vcc, s4, v5
	v_addc_co_u32_e32 v6, vcc, v1, v6, vcc
	global_load_dword v8, v[5:6], off
	v_mul_f32_e32 v1, s2, v2
	s_mov_b64 s[0:1], 0
.LBB74_40:                              ; =>This Inner Loop Header: Depth=1
	s_waitcnt vmcnt(0)
	v_add_f32_e32 v7, v8, v1
	global_atomic_cmpswap v7, v[5:6], v[7:8], off glc
	s_waitcnt vmcnt(0)
	v_cmp_eq_u32_e32 vcc, v7, v8
	s_or_b64 s[0:1], vcc, s[0:1]
	v_mov_b32_e32 v8, v7
	s_andn2_b64 exec, exec, s[0:1]
	s_cbranch_execnz .LBB74_40
.LBB74_41:
	s_or_b64 exec, exec, s[6:7]
	v_cmp_lt_i64_e32 vcc, -1, v[3:4]
	v_cmp_eq_u32_e64 s[0:1], s3, v0
	s_and_b64 s[0:1], s[0:1], vcc
	s_and_saveexec_b64 s[6:7], s[0:1]
	s_cbranch_execz .LBB74_44
; %bb.42:
	v_lshlrev_b64 v[0:1], 2, v[3:4]
	v_mov_b32_e32 v3, s5
	v_add_co_u32_e32 v0, vcc, s4, v0
	v_addc_co_u32_e32 v1, vcc, v3, v1, vcc
	global_load_dword v3, v[0:1], off
	v_mul_f32_e32 v4, s2, v2
	s_mov_b64 s[0:1], 0
.LBB74_43:                              ; =>This Inner Loop Header: Depth=1
	s_waitcnt vmcnt(0)
	v_add_f32_e32 v2, v3, v4
	global_atomic_cmpswap v2, v[0:1], v[2:3], off glc
	s_waitcnt vmcnt(0)
	v_cmp_eq_u32_e32 vcc, v2, v3
	s_or_b64 s[0:1], vcc, s[0:1]
	v_mov_b32_e32 v3, v2
	s_andn2_b64 exec, exec, s[0:1]
	s_cbranch_execnz .LBB74_43
.LBB74_44:
	s_endpgm
	.section	.rodata,"a",@progbits
	.p2align	6, 0x0
	.amdhsa_kernel _ZN9rocsparseL19coomvn_atomic_loopsILj256ELj1El18rocsparse_bfloat16S1_ffEEvlNS_24const_host_device_scalarIT5_EEPKT1_S7_PKT2_PKT3_PT4_21rocsparse_index_base_b
		.amdhsa_group_segment_fixed_size 3072
		.amdhsa_private_segment_fixed_size 0
		.amdhsa_kernarg_size 64
		.amdhsa_user_sgpr_count 6
		.amdhsa_user_sgpr_private_segment_buffer 1
		.amdhsa_user_sgpr_dispatch_ptr 0
		.amdhsa_user_sgpr_queue_ptr 0
		.amdhsa_user_sgpr_kernarg_segment_ptr 1
		.amdhsa_user_sgpr_dispatch_id 0
		.amdhsa_user_sgpr_flat_scratch_init 0
		.amdhsa_user_sgpr_private_segment_size 0
		.amdhsa_uses_dynamic_stack 0
		.amdhsa_system_sgpr_private_segment_wavefront_offset 0
		.amdhsa_system_sgpr_workgroup_id_x 1
		.amdhsa_system_sgpr_workgroup_id_y 0
		.amdhsa_system_sgpr_workgroup_id_z 0
		.amdhsa_system_sgpr_workgroup_info 0
		.amdhsa_system_vgpr_workitem_id 0
		.amdhsa_next_free_vgpr 10
		.amdhsa_next_free_sgpr 18
		.amdhsa_reserve_vcc 1
		.amdhsa_reserve_flat_scratch 0
		.amdhsa_float_round_mode_32 0
		.amdhsa_float_round_mode_16_64 0
		.amdhsa_float_denorm_mode_32 3
		.amdhsa_float_denorm_mode_16_64 3
		.amdhsa_dx10_clamp 1
		.amdhsa_ieee_mode 1
		.amdhsa_fp16_overflow 0
		.amdhsa_exception_fp_ieee_invalid_op 0
		.amdhsa_exception_fp_denorm_src 0
		.amdhsa_exception_fp_ieee_div_zero 0
		.amdhsa_exception_fp_ieee_overflow 0
		.amdhsa_exception_fp_ieee_underflow 0
		.amdhsa_exception_fp_ieee_inexact 0
		.amdhsa_exception_int_div_zero 0
	.end_amdhsa_kernel
	.section	.text._ZN9rocsparseL19coomvn_atomic_loopsILj256ELj1El18rocsparse_bfloat16S1_ffEEvlNS_24const_host_device_scalarIT5_EEPKT1_S7_PKT2_PKT3_PT4_21rocsparse_index_base_b,"axG",@progbits,_ZN9rocsparseL19coomvn_atomic_loopsILj256ELj1El18rocsparse_bfloat16S1_ffEEvlNS_24const_host_device_scalarIT5_EEPKT1_S7_PKT2_PKT3_PT4_21rocsparse_index_base_b,comdat
.Lfunc_end74:
	.size	_ZN9rocsparseL19coomvn_atomic_loopsILj256ELj1El18rocsparse_bfloat16S1_ffEEvlNS_24const_host_device_scalarIT5_EEPKT1_S7_PKT2_PKT3_PT4_21rocsparse_index_base_b, .Lfunc_end74-_ZN9rocsparseL19coomvn_atomic_loopsILj256ELj1El18rocsparse_bfloat16S1_ffEEvlNS_24const_host_device_scalarIT5_EEPKT1_S7_PKT2_PKT3_PT4_21rocsparse_index_base_b
                                        ; -- End function
	.set _ZN9rocsparseL19coomvn_atomic_loopsILj256ELj1El18rocsparse_bfloat16S1_ffEEvlNS_24const_host_device_scalarIT5_EEPKT1_S7_PKT2_PKT3_PT4_21rocsparse_index_base_b.num_vgpr, 10
	.set _ZN9rocsparseL19coomvn_atomic_loopsILj256ELj1El18rocsparse_bfloat16S1_ffEEvlNS_24const_host_device_scalarIT5_EEPKT1_S7_PKT2_PKT3_PT4_21rocsparse_index_base_b.num_agpr, 0
	.set _ZN9rocsparseL19coomvn_atomic_loopsILj256ELj1El18rocsparse_bfloat16S1_ffEEvlNS_24const_host_device_scalarIT5_EEPKT1_S7_PKT2_PKT3_PT4_21rocsparse_index_base_b.numbered_sgpr, 18
	.set _ZN9rocsparseL19coomvn_atomic_loopsILj256ELj1El18rocsparse_bfloat16S1_ffEEvlNS_24const_host_device_scalarIT5_EEPKT1_S7_PKT2_PKT3_PT4_21rocsparse_index_base_b.num_named_barrier, 0
	.set _ZN9rocsparseL19coomvn_atomic_loopsILj256ELj1El18rocsparse_bfloat16S1_ffEEvlNS_24const_host_device_scalarIT5_EEPKT1_S7_PKT2_PKT3_PT4_21rocsparse_index_base_b.private_seg_size, 0
	.set _ZN9rocsparseL19coomvn_atomic_loopsILj256ELj1El18rocsparse_bfloat16S1_ffEEvlNS_24const_host_device_scalarIT5_EEPKT1_S7_PKT2_PKT3_PT4_21rocsparse_index_base_b.uses_vcc, 1
	.set _ZN9rocsparseL19coomvn_atomic_loopsILj256ELj1El18rocsparse_bfloat16S1_ffEEvlNS_24const_host_device_scalarIT5_EEPKT1_S7_PKT2_PKT3_PT4_21rocsparse_index_base_b.uses_flat_scratch, 0
	.set _ZN9rocsparseL19coomvn_atomic_loopsILj256ELj1El18rocsparse_bfloat16S1_ffEEvlNS_24const_host_device_scalarIT5_EEPKT1_S7_PKT2_PKT3_PT4_21rocsparse_index_base_b.has_dyn_sized_stack, 0
	.set _ZN9rocsparseL19coomvn_atomic_loopsILj256ELj1El18rocsparse_bfloat16S1_ffEEvlNS_24const_host_device_scalarIT5_EEPKT1_S7_PKT2_PKT3_PT4_21rocsparse_index_base_b.has_recursion, 0
	.set _ZN9rocsparseL19coomvn_atomic_loopsILj256ELj1El18rocsparse_bfloat16S1_ffEEvlNS_24const_host_device_scalarIT5_EEPKT1_S7_PKT2_PKT3_PT4_21rocsparse_index_base_b.has_indirect_call, 0
	.section	.AMDGPU.csdata,"",@progbits
; Kernel info:
; codeLenInByte = 1284
; TotalNumSgprs: 22
; NumVgprs: 10
; ScratchSize: 0
; MemoryBound: 0
; FloatMode: 240
; IeeeMode: 1
; LDSByteSize: 3072 bytes/workgroup (compile time only)
; SGPRBlocks: 2
; VGPRBlocks: 2
; NumSGPRsForWavesPerEU: 22
; NumVGPRsForWavesPerEU: 10
; Occupancy: 10
; WaveLimiterHint : 1
; COMPUTE_PGM_RSRC2:SCRATCH_EN: 0
; COMPUTE_PGM_RSRC2:USER_SGPR: 6
; COMPUTE_PGM_RSRC2:TRAP_HANDLER: 0
; COMPUTE_PGM_RSRC2:TGID_X_EN: 1
; COMPUTE_PGM_RSRC2:TGID_Y_EN: 0
; COMPUTE_PGM_RSRC2:TGID_Z_EN: 0
; COMPUTE_PGM_RSRC2:TIDIG_COMP_CNT: 0
	.section	.text._ZN9rocsparseL19coomvn_atomic_loopsILj256ELj2El18rocsparse_bfloat16S1_ffEEvlNS_24const_host_device_scalarIT5_EEPKT1_S7_PKT2_PKT3_PT4_21rocsparse_index_base_b,"axG",@progbits,_ZN9rocsparseL19coomvn_atomic_loopsILj256ELj2El18rocsparse_bfloat16S1_ffEEvlNS_24const_host_device_scalarIT5_EEPKT1_S7_PKT2_PKT3_PT4_21rocsparse_index_base_b,comdat
	.globl	_ZN9rocsparseL19coomvn_atomic_loopsILj256ELj2El18rocsparse_bfloat16S1_ffEEvlNS_24const_host_device_scalarIT5_EEPKT1_S7_PKT2_PKT3_PT4_21rocsparse_index_base_b ; -- Begin function _ZN9rocsparseL19coomvn_atomic_loopsILj256ELj2El18rocsparse_bfloat16S1_ffEEvlNS_24const_host_device_scalarIT5_EEPKT1_S7_PKT2_PKT3_PT4_21rocsparse_index_base_b
	.p2align	8
	.type	_ZN9rocsparseL19coomvn_atomic_loopsILj256ELj2El18rocsparse_bfloat16S1_ffEEvlNS_24const_host_device_scalarIT5_EEPKT1_S7_PKT2_PKT3_PT4_21rocsparse_index_base_b,@function
_ZN9rocsparseL19coomvn_atomic_loopsILj256ELj2El18rocsparse_bfloat16S1_ffEEvlNS_24const_host_device_scalarIT5_EEPKT1_S7_PKT2_PKT3_PT4_21rocsparse_index_base_b: ; @_ZN9rocsparseL19coomvn_atomic_loopsILj256ELj2El18rocsparse_bfloat16S1_ffEEvlNS_24const_host_device_scalarIT5_EEPKT1_S7_PKT2_PKT3_PT4_21rocsparse_index_base_b
; %bb.0:
	s_load_dwordx2 s[34:35], s[4:5], 0x38
	s_load_dwordx4 s[36:39], s[4:5], 0x0
	s_waitcnt lgkmcnt(0)
	s_bitcmp1_b32 s35, 0
	s_cselect_b64 s[0:1], -1, 0
	s_and_b64 vcc, exec, s[0:1]
	s_cbranch_vccnz .LBB75_2
; %bb.1:
	s_load_dword s38, s[38:39], 0x0
.LBB75_2:
	s_waitcnt lgkmcnt(0)
	v_cmp_eq_f32_e64 s[0:1], s38, 0
	s_and_b64 vcc, exec, s[0:1]
	s_cbranch_vccnz .LBB75_92
; %bb.3:
	s_load_dwordx8 s[24:31], s[4:5], 0x10
	v_lshl_or_b32 v5, s6, 9, v0
	v_mov_b32_e32 v6, 0
	v_cmp_gt_i64_e32 vcc, s[36:37], v[5:6]
	v_mov_b32_e32 v7, -1
	v_lshlrev_b64 v[3:4], 3, v[5:6]
	v_lshlrev_b64 v[1:2], 1, v[5:6]
	v_mov_b32_e32 v8, -1
	s_and_saveexec_b64 s[0:1], vcc
	s_cbranch_execz .LBB75_5
; %bb.4:
	s_waitcnt lgkmcnt(0)
	v_mov_b32_e32 v7, s27
	v_add_co_u32_e32 v6, vcc, s26, v3
	v_addc_co_u32_e32 v7, vcc, v7, v4, vcc
	global_load_dwordx2 v[6:7], v[6:7], off glc slc
	v_mov_b32_e32 v9, s25
	v_add_co_u32_e32 v8, vcc, s24, v3
	v_addc_co_u32_e32 v9, vcc, v9, v4, vcc
	v_mov_b32_e32 v11, s29
	v_add_co_u32_e32 v10, vcc, s28, v1
	v_addc_co_u32_e32 v11, vcc, v11, v2, vcc
	v_mov_b32_e32 v12, s31
	global_load_dwordx2 v[8:9], v[8:9], off glc slc
	s_waitcnt vmcnt(1)
	v_subrev_co_u32_e32 v6, vcc, s34, v6
	v_subbrev_co_u32_e32 v7, vcc, 0, v7, vcc
	v_lshlrev_b64 v[6:7], 1, v[6:7]
	v_add_co_u32_e32 v6, vcc, s30, v6
	v_addc_co_u32_e32 v7, vcc, v12, v7, vcc
	global_load_ushort v12, v[6:7], off
	global_load_ushort v13, v[10:11], off
	s_waitcnt vmcnt(2)
	v_subrev_co_u32_e32 v7, vcc, s34, v8
	v_subbrev_co_u32_e32 v8, vcc, 0, v9, vcc
	s_waitcnt vmcnt(1)
	v_lshlrev_b32_e32 v6, 16, v12
	s_waitcnt vmcnt(0)
	v_lshlrev_b32_e32 v9, 16, v13
	v_mul_f32_e32 v6, v9, v6
.LBB75_5:
	s_or_b64 exec, exec, s[0:1]
	v_lshlrev_b32_e32 v11, 3, v0
	v_lshlrev_b32_e32 v9, 2, v0
	v_or_b32_e32 v12, 0x800, v9
	v_cmp_eq_u32_e64 s[18:19], 0, v0
	v_cmp_ne_u32_e64 s[0:1], 0, v0
	v_add_u32_e32 v13, -8, v11
	ds_write_b64 v11, v[7:8]
	ds_write_b32 v9, v6 offset:2048
	s_waitcnt lgkmcnt(0)
	s_barrier
	s_and_saveexec_b64 s[2:3], s[0:1]
	s_cbranch_execz .LBB75_9
; %bb.6:
	ds_read_b64 v[9:10], v13
	s_waitcnt lgkmcnt(0)
	v_cmp_eq_u64_e32 vcc, v[7:8], v[9:10]
	s_and_saveexec_b64 s[6:7], vcc
	s_cbranch_execz .LBB75_8
; %bb.7:
	v_add_u32_e32 v9, -4, v12
	ds_read_b32 v9, v9
	s_waitcnt lgkmcnt(0)
	v_add_f32_e32 v6, v6, v9
.LBB75_8:
	s_or_b64 exec, exec, s[6:7]
.LBB75_9:
	s_or_b64 exec, exec, s[2:3]
	v_cmp_lt_u32_e64 s[2:3], 1, v0
	v_add_u32_e32 v14, -16, v11
	s_barrier
	ds_write_b32 v12, v6
	s_waitcnt lgkmcnt(0)
	s_barrier
	s_and_saveexec_b64 s[6:7], s[2:3]
	s_cbranch_execz .LBB75_13
; %bb.10:
	ds_read_b64 v[9:10], v14
	s_waitcnt lgkmcnt(0)
	v_cmp_eq_u64_e32 vcc, v[7:8], v[9:10]
	s_and_saveexec_b64 s[8:9], vcc
	s_cbranch_execz .LBB75_12
; %bb.11:
	v_add_u32_e32 v9, -8, v12
	ds_read_b32 v9, v9
	s_waitcnt lgkmcnt(0)
	v_add_f32_e32 v6, v6, v9
.LBB75_12:
	s_or_b64 exec, exec, s[8:9]
.LBB75_13:
	s_or_b64 exec, exec, s[6:7]
	v_cmp_lt_u32_e64 s[20:21], 3, v0
	v_subrev_u32_e32 v15, 32, v11
	s_barrier
	ds_write_b32 v12, v6
	s_waitcnt lgkmcnt(0)
	s_barrier
	s_and_saveexec_b64 s[6:7], s[20:21]
	s_cbranch_execz .LBB75_17
; %bb.14:
	ds_read_b64 v[9:10], v15
	s_waitcnt lgkmcnt(0)
	v_cmp_eq_u64_e32 vcc, v[7:8], v[9:10]
	s_and_saveexec_b64 s[8:9], vcc
	s_cbranch_execz .LBB75_16
; %bb.15:
	v_add_u32_e32 v9, -16, v12
	ds_read_b32 v9, v9
	s_waitcnt lgkmcnt(0)
	v_add_f32_e32 v6, v6, v9
.LBB75_16:
	s_or_b64 exec, exec, s[8:9]
.LBB75_17:
	s_or_b64 exec, exec, s[6:7]
	v_cmp_lt_u32_e64 s[6:7], 7, v0
	v_subrev_u32_e32 v16, 64, v11
	s_barrier
	ds_write_b32 v12, v6
	s_waitcnt lgkmcnt(0)
	s_barrier
	s_and_saveexec_b64 s[8:9], s[6:7]
	s_cbranch_execz .LBB75_21
; %bb.18:
	ds_read_b64 v[9:10], v16
	s_waitcnt lgkmcnt(0)
	v_cmp_eq_u64_e32 vcc, v[7:8], v[9:10]
	s_and_saveexec_b64 s[10:11], vcc
	s_cbranch_execz .LBB75_20
; %bb.19:
	v_subrev_u32_e32 v9, 32, v12
	ds_read_b32 v9, v9
	s_waitcnt lgkmcnt(0)
	v_add_f32_e32 v6, v6, v9
.LBB75_20:
	s_or_b64 exec, exec, s[10:11]
.LBB75_21:
	s_or_b64 exec, exec, s[8:9]
	v_cmp_lt_u32_e64 s[8:9], 15, v0
	s_barrier
	ds_write_b32 v12, v6
	s_waitcnt lgkmcnt(0)
	s_barrier
	s_and_saveexec_b64 s[10:11], s[8:9]
	s_cbranch_execz .LBB75_25
; %bb.22:
	v_add_u32_e32 v9, 0xffffff80, v11
	ds_read_b64 v[9:10], v9
	s_waitcnt lgkmcnt(0)
	v_cmp_eq_u64_e32 vcc, v[7:8], v[9:10]
	s_and_saveexec_b64 s[12:13], vcc
	s_cbranch_execz .LBB75_24
; %bb.23:
	v_subrev_u32_e32 v9, 64, v12
	ds_read_b32 v9, v9
	s_waitcnt lgkmcnt(0)
	v_add_f32_e32 v6, v6, v9
.LBB75_24:
	s_or_b64 exec, exec, s[12:13]
.LBB75_25:
	s_or_b64 exec, exec, s[10:11]
	v_cmp_lt_u32_e64 s[10:11], 31, v0
	s_barrier
	ds_write_b32 v12, v6
	s_waitcnt lgkmcnt(0)
	s_barrier
	s_and_saveexec_b64 s[12:13], s[10:11]
	s_cbranch_execz .LBB75_29
; %bb.26:
	v_add_u32_e32 v9, 0xffffff00, v11
	ds_read_b64 v[9:10], v9
	s_waitcnt lgkmcnt(0)
	v_cmp_eq_u64_e32 vcc, v[7:8], v[9:10]
	s_and_saveexec_b64 s[14:15], vcc
	s_cbranch_execz .LBB75_28
; %bb.27:
	v_add_u32_e32 v9, 0xffffff80, v12
	ds_read_b32 v9, v9
	s_waitcnt lgkmcnt(0)
	v_add_f32_e32 v6, v6, v9
.LBB75_28:
	s_or_b64 exec, exec, s[14:15]
.LBB75_29:
	s_or_b64 exec, exec, s[12:13]
	v_cmp_lt_u32_e64 s[12:13], 63, v0
	s_barrier
	ds_write_b32 v12, v6
	s_waitcnt lgkmcnt(0)
	s_barrier
	s_and_saveexec_b64 s[14:15], s[12:13]
	s_cbranch_execz .LBB75_33
; %bb.30:
	v_add_u32_e32 v9, 0xfffffe00, v11
	ds_read_b64 v[9:10], v9
	s_waitcnt lgkmcnt(0)
	v_cmp_eq_u64_e32 vcc, v[7:8], v[9:10]
	s_and_saveexec_b64 s[16:17], vcc
	s_cbranch_execz .LBB75_32
; %bb.31:
	v_add_u32_e32 v9, 0xffffff00, v12
	ds_read_b32 v9, v9
	s_waitcnt lgkmcnt(0)
	v_add_f32_e32 v6, v6, v9
.LBB75_32:
	s_or_b64 exec, exec, s[16:17]
.LBB75_33:
	s_or_b64 exec, exec, s[14:15]
	s_load_dwordx2 s[22:23], s[4:5], 0x30
	s_movk_i32 s4, 0x7f
	v_cmp_lt_u32_e64 s[14:15], s4, v0
	s_waitcnt lgkmcnt(0)
	s_barrier
	ds_write_b32 v12, v6
	s_waitcnt lgkmcnt(0)
	s_barrier
	s_and_saveexec_b64 s[4:5], s[14:15]
	s_cbranch_execz .LBB75_37
; %bb.34:
	v_add_u32_e32 v9, 0xfffffc00, v11
	ds_read_b64 v[9:10], v9
	s_waitcnt lgkmcnt(0)
	v_cmp_eq_u64_e32 vcc, v[7:8], v[9:10]
	s_and_saveexec_b64 s[16:17], vcc
	s_cbranch_execz .LBB75_36
; %bb.35:
	v_add_u32_e32 v9, 0xfffffe00, v12
	ds_read_b32 v9, v9
	s_waitcnt lgkmcnt(0)
	v_add_f32_e32 v6, v6, v9
.LBB75_36:
	s_or_b64 exec, exec, s[16:17]
.LBB75_37:
	s_or_b64 exec, exec, s[4:5]
	s_movk_i32 s4, 0xff
	v_cmp_gt_u32_e64 s[16:17], s4, v0
	s_barrier
	ds_write_b32 v12, v6
	s_waitcnt lgkmcnt(0)
	s_barrier
	s_and_saveexec_b64 s[40:41], s[16:17]
	s_cbranch_execz .LBB75_41
; %bb.38:
	ds_read_b64 v[9:10], v11 offset:8
	v_cmp_lt_i64_e64 s[4:5], -1, v[7:8]
	s_waitcnt lgkmcnt(0)
	v_cmp_ne_u64_e32 vcc, v[7:8], v[9:10]
	s_and_b64 s[4:5], s[4:5], vcc
	s_and_b64 exec, exec, s[4:5]
	s_cbranch_execz .LBB75_41
; %bb.39:
	v_lshlrev_b64 v[7:8], 2, v[7:8]
	v_mov_b32_e32 v9, s23
	v_add_co_u32_e32 v7, vcc, s22, v7
	v_addc_co_u32_e32 v8, vcc, v9, v8, vcc
	global_load_dword v10, v[7:8], off
	v_mul_f32_e32 v6, s38, v6
	s_mov_b64 s[4:5], 0
.LBB75_40:                              ; =>This Inner Loop Header: Depth=1
	s_waitcnt vmcnt(0)
	v_add_f32_e32 v9, v10, v6
	global_atomic_cmpswap v9, v[7:8], v[9:10], off glc
	s_waitcnt vmcnt(0)
	v_cmp_eq_u32_e32 vcc, v9, v10
	s_or_b64 s[4:5], vcc, s[4:5]
	v_mov_b32_e32 v10, v9
	s_andn2_b64 exec, exec, s[4:5]
	s_cbranch_execnz .LBB75_40
.LBB75_41:
	s_or_b64 exec, exec, s[40:41]
	v_add_co_u32_e32 v5, vcc, 0x100, v5
	v_addc_co_u32_e64 v6, s[4:5], 0, 0, vcc
	v_cmp_gt_i64_e32 vcc, s[36:37], v[5:6]
	v_mov_b32_e32 v5, -1
	v_mov_b32_e32 v6, -1
	v_mov_b32_e32 v7, 0
	s_and_saveexec_b64 s[4:5], vcc
	s_cbranch_execz .LBB75_43
; %bb.42:
	v_mov_b32_e32 v6, s27
	v_add_co_u32_e32 v5, vcc, s26, v3
	v_addc_co_u32_e32 v6, vcc, v6, v4, vcc
	global_load_dwordx2 v[5:6], v[5:6], off offset:2048 glc slc
	v_mov_b32_e32 v7, s25
	v_add_co_u32_e32 v3, vcc, s24, v3
	v_addc_co_u32_e32 v4, vcc, v7, v4, vcc
	v_mov_b32_e32 v8, s29
	v_add_co_u32_e32 v1, vcc, s28, v1
	v_addc_co_u32_e32 v2, vcc, v8, v2, vcc
	v_mov_b32_e32 v9, s31
	global_load_dwordx2 v[3:4], v[3:4], off offset:2048 glc slc
	s_waitcnt vmcnt(1)
	v_subrev_co_u32_e32 v5, vcc, s34, v5
	v_subbrev_co_u32_e32 v6, vcc, 0, v6, vcc
	v_lshlrev_b64 v[5:6], 1, v[5:6]
	v_add_co_u32_e32 v5, vcc, s30, v5
	v_addc_co_u32_e32 v6, vcc, v9, v6, vcc
	global_load_ushort v7, v[5:6], off
	global_load_ushort v8, v[1:2], off offset:512
	s_waitcnt vmcnt(2)
	v_subrev_co_u32_e32 v5, vcc, s34, v3
	v_subbrev_co_u32_e32 v6, vcc, 0, v4, vcc
	s_waitcnt vmcnt(1)
	v_lshlrev_b32_e32 v1, 16, v7
	s_waitcnt vmcnt(0)
	v_lshlrev_b32_e32 v2, 16, v8
	v_mul_f32_e32 v7, v2, v1
.LBB75_43:
	s_or_b64 exec, exec, s[4:5]
	s_and_saveexec_b64 s[4:5], s[18:19]
	s_cbranch_execz .LBB75_53
; %bb.44:
	v_mov_b32_e32 v1, 0
	ds_read_b64 v[1:2], v1 offset:2040
	s_waitcnt lgkmcnt(0)
	v_cmp_ne_u64_e32 vcc, v[5:6], v[1:2]
	s_and_saveexec_b64 s[18:19], vcc
	s_xor_b64 s[18:19], exec, s[18:19]
	s_cbranch_execz .LBB75_50
; %bb.45:
	v_cmp_gt_i64_e32 vcc, 0, v[1:2]
	s_cbranch_vccnz .LBB75_50
; %bb.46:
	s_mov_b64 s[26:27], exec
	v_mbcnt_lo_u32_b32 v3, s26, 0
	v_mbcnt_hi_u32_b32 v3, s27, v3
	v_cmp_eq_u32_e32 vcc, 0, v3
	s_and_saveexec_b64 s[24:25], vcc
	s_cbranch_execz .LBB75_49
; %bb.47:
	v_lshlrev_b64 v[1:2], 2, v[1:2]
	v_mov_b32_e32 v3, s23
	v_add_co_u32_e32 v1, vcc, s22, v1
	v_addc_co_u32_e32 v2, vcc, v3, v2, vcc
	global_load_dword v4, v[1:2], off
	v_mov_b32_e32 v3, 0
	ds_read_b32 v3, v3 offset:3068
	s_bcnt1_i32_b64 s26, s[26:27]
	v_cvt_f32_ubyte0_e32 v8, s26
	s_mov_b64 s[26:27], 0
	s_waitcnt lgkmcnt(0)
	v_mul_f32_e32 v3, s38, v3
	v_mul_f32_e32 v8, v3, v8
.LBB75_48:                              ; =>This Inner Loop Header: Depth=1
	s_waitcnt vmcnt(0)
	v_add_f32_e32 v3, v4, v8
	global_atomic_cmpswap v3, v[1:2], v[3:4], off glc
	s_waitcnt vmcnt(0)
	v_cmp_eq_u32_e32 vcc, v3, v4
	s_or_b64 s[26:27], vcc, s[26:27]
	v_mov_b32_e32 v4, v3
	s_andn2_b64 exec, exec, s[26:27]
	s_cbranch_execnz .LBB75_48
.LBB75_49:
	s_or_b64 exec, exec, s[24:25]
.LBB75_50:
	s_andn2_saveexec_b64 s[18:19], s[18:19]
	s_cbranch_execz .LBB75_52
; %bb.51:
	v_mov_b32_e32 v1, 0
	ds_read_b32 v1, v1 offset:3068
	s_waitcnt lgkmcnt(0)
	v_add_f32_e32 v7, v7, v1
.LBB75_52:
	s_or_b64 exec, exec, s[18:19]
.LBB75_53:
	s_or_b64 exec, exec, s[4:5]
	s_barrier
	ds_write_b64 v11, v[5:6]
	ds_write_b32 v12, v7
	s_waitcnt lgkmcnt(0)
	s_barrier
	s_and_saveexec_b64 s[4:5], s[0:1]
	s_cbranch_execz .LBB75_57
; %bb.54:
	ds_read_b64 v[1:2], v13
	s_waitcnt lgkmcnt(0)
	v_cmp_eq_u64_e32 vcc, v[5:6], v[1:2]
	s_and_saveexec_b64 s[0:1], vcc
	s_cbranch_execz .LBB75_56
; %bb.55:
	v_add_u32_e32 v1, -4, v12
	ds_read_b32 v1, v1
	s_waitcnt lgkmcnt(0)
	v_add_f32_e32 v7, v7, v1
.LBB75_56:
	s_or_b64 exec, exec, s[0:1]
.LBB75_57:
	s_or_b64 exec, exec, s[4:5]
	s_barrier
	ds_write_b32 v12, v7
	s_waitcnt lgkmcnt(0)
	s_barrier
	s_and_saveexec_b64 s[0:1], s[2:3]
	s_cbranch_execz .LBB75_61
; %bb.58:
	ds_read_b64 v[1:2], v14
	s_waitcnt lgkmcnt(0)
	v_cmp_eq_u64_e32 vcc, v[5:6], v[1:2]
	s_and_saveexec_b64 s[2:3], vcc
	s_cbranch_execz .LBB75_60
; %bb.59:
	v_add_u32_e32 v1, -8, v12
	ds_read_b32 v1, v1
	s_waitcnt lgkmcnt(0)
	v_add_f32_e32 v7, v7, v1
.LBB75_60:
	s_or_b64 exec, exec, s[2:3]
.LBB75_61:
	s_or_b64 exec, exec, s[0:1]
	s_barrier
	;; [unrolled: 21-line block ×3, first 2 shown]
	ds_write_b32 v12, v7
	s_waitcnt lgkmcnt(0)
	s_barrier
	s_and_saveexec_b64 s[0:1], s[6:7]
	s_cbranch_execz .LBB75_69
; %bb.66:
	ds_read_b64 v[1:2], v16
	s_waitcnt lgkmcnt(0)
	v_cmp_eq_u64_e32 vcc, v[5:6], v[1:2]
	s_and_saveexec_b64 s[2:3], vcc
	s_cbranch_execz .LBB75_68
; %bb.67:
	v_subrev_u32_e32 v1, 32, v12
	ds_read_b32 v1, v1
	s_waitcnt lgkmcnt(0)
	v_add_f32_e32 v7, v7, v1
.LBB75_68:
	s_or_b64 exec, exec, s[2:3]
.LBB75_69:
	s_or_b64 exec, exec, s[0:1]
	s_barrier
	ds_write_b32 v12, v7
	s_waitcnt lgkmcnt(0)
	s_barrier
	s_and_saveexec_b64 s[0:1], s[8:9]
	s_cbranch_execz .LBB75_73
; %bb.70:
	v_add_u32_e32 v1, 0xffffff80, v11
	ds_read_b64 v[1:2], v1
	s_waitcnt lgkmcnt(0)
	v_cmp_eq_u64_e32 vcc, v[5:6], v[1:2]
	s_and_saveexec_b64 s[2:3], vcc
	s_cbranch_execz .LBB75_72
; %bb.71:
	v_subrev_u32_e32 v1, 64, v12
	ds_read_b32 v1, v1
	s_waitcnt lgkmcnt(0)
	v_add_f32_e32 v7, v7, v1
.LBB75_72:
	s_or_b64 exec, exec, s[2:3]
.LBB75_73:
	s_or_b64 exec, exec, s[0:1]
	s_barrier
	ds_write_b32 v12, v7
	s_waitcnt lgkmcnt(0)
	s_barrier
	s_and_saveexec_b64 s[0:1], s[10:11]
	s_cbranch_execz .LBB75_77
; %bb.74:
	v_add_u32_e32 v1, 0xffffff00, v11
	ds_read_b64 v[1:2], v1
	s_waitcnt lgkmcnt(0)
	v_cmp_eq_u64_e32 vcc, v[5:6], v[1:2]
	s_and_saveexec_b64 s[2:3], vcc
	s_cbranch_execz .LBB75_76
; %bb.75:
	v_add_u32_e32 v1, 0xffffff80, v12
	ds_read_b32 v1, v1
	s_waitcnt lgkmcnt(0)
	v_add_f32_e32 v7, v7, v1
.LBB75_76:
	s_or_b64 exec, exec, s[2:3]
.LBB75_77:
	s_or_b64 exec, exec, s[0:1]
	s_barrier
	ds_write_b32 v12, v7
	s_waitcnt lgkmcnt(0)
	s_barrier
	s_and_saveexec_b64 s[0:1], s[12:13]
	s_cbranch_execz .LBB75_81
; %bb.78:
	v_add_u32_e32 v1, 0xfffffe00, v11
	ds_read_b64 v[1:2], v1
	s_waitcnt lgkmcnt(0)
	v_cmp_eq_u64_e32 vcc, v[5:6], v[1:2]
	s_and_saveexec_b64 s[2:3], vcc
	s_cbranch_execz .LBB75_80
; %bb.79:
	v_add_u32_e32 v1, 0xffffff00, v12
	ds_read_b32 v1, v1
	s_waitcnt lgkmcnt(0)
	v_add_f32_e32 v7, v7, v1
.LBB75_80:
	s_or_b64 exec, exec, s[2:3]
.LBB75_81:
	;; [unrolled: 22-line block ×3, first 2 shown]
	s_or_b64 exec, exec, s[0:1]
	s_barrier
	ds_write_b32 v12, v7
	s_waitcnt lgkmcnt(0)
	s_barrier
	s_and_saveexec_b64 s[2:3], s[16:17]
	s_cbranch_execz .LBB75_89
; %bb.86:
	ds_read_b64 v[1:2], v11 offset:8
	v_cmp_lt_i64_e64 s[0:1], -1, v[5:6]
	s_waitcnt lgkmcnt(0)
	v_cmp_ne_u64_e32 vcc, v[5:6], v[1:2]
	s_and_b64 s[0:1], s[0:1], vcc
	s_and_b64 exec, exec, s[0:1]
	s_cbranch_execz .LBB75_89
; %bb.87:
	v_lshlrev_b64 v[1:2], 2, v[5:6]
	v_mov_b32_e32 v3, s23
	v_add_co_u32_e32 v1, vcc, s22, v1
	v_addc_co_u32_e32 v2, vcc, v3, v2, vcc
	global_load_dword v4, v[1:2], off
	v_mul_f32_e32 v8, s38, v7
	s_mov_b64 s[0:1], 0
.LBB75_88:                              ; =>This Inner Loop Header: Depth=1
	s_waitcnt vmcnt(0)
	v_add_f32_e32 v3, v4, v8
	global_atomic_cmpswap v3, v[1:2], v[3:4], off glc
	s_waitcnt vmcnt(0)
	v_cmp_eq_u32_e32 vcc, v3, v4
	s_or_b64 s[0:1], vcc, s[0:1]
	v_mov_b32_e32 v4, v3
	s_andn2_b64 exec, exec, s[0:1]
	s_cbranch_execnz .LBB75_88
.LBB75_89:
	s_or_b64 exec, exec, s[2:3]
	s_movk_i32 s0, 0xff
	v_cmp_lt_i64_e32 vcc, -1, v[5:6]
	v_cmp_eq_u32_e64 s[0:1], s0, v0
	s_and_b64 s[0:1], s[0:1], vcc
	s_and_saveexec_b64 s[2:3], s[0:1]
	s_cbranch_execz .LBB75_92
; %bb.90:
	v_lshlrev_b64 v[0:1], 2, v[5:6]
	v_mov_b32_e32 v2, s23
	v_add_co_u32_e32 v0, vcc, s22, v0
	v_addc_co_u32_e32 v1, vcc, v2, v1, vcc
	global_load_dword v3, v[0:1], off
	v_mul_f32_e32 v4, s38, v7
	s_mov_b64 s[0:1], 0
.LBB75_91:                              ; =>This Inner Loop Header: Depth=1
	s_waitcnt vmcnt(0)
	v_add_f32_e32 v2, v3, v4
	global_atomic_cmpswap v2, v[0:1], v[2:3], off glc
	s_waitcnt vmcnt(0)
	v_cmp_eq_u32_e32 vcc, v2, v3
	s_or_b64 s[0:1], vcc, s[0:1]
	v_mov_b32_e32 v3, v2
	s_andn2_b64 exec, exec, s[0:1]
	s_cbranch_execnz .LBB75_91
.LBB75_92:
	s_endpgm
	.section	.rodata,"a",@progbits
	.p2align	6, 0x0
	.amdhsa_kernel _ZN9rocsparseL19coomvn_atomic_loopsILj256ELj2El18rocsparse_bfloat16S1_ffEEvlNS_24const_host_device_scalarIT5_EEPKT1_S7_PKT2_PKT3_PT4_21rocsparse_index_base_b
		.amdhsa_group_segment_fixed_size 3072
		.amdhsa_private_segment_fixed_size 0
		.amdhsa_kernarg_size 64
		.amdhsa_user_sgpr_count 6
		.amdhsa_user_sgpr_private_segment_buffer 1
		.amdhsa_user_sgpr_dispatch_ptr 0
		.amdhsa_user_sgpr_queue_ptr 0
		.amdhsa_user_sgpr_kernarg_segment_ptr 1
		.amdhsa_user_sgpr_dispatch_id 0
		.amdhsa_user_sgpr_flat_scratch_init 0
		.amdhsa_user_sgpr_private_segment_size 0
		.amdhsa_uses_dynamic_stack 0
		.amdhsa_system_sgpr_private_segment_wavefront_offset 0
		.amdhsa_system_sgpr_workgroup_id_x 1
		.amdhsa_system_sgpr_workgroup_id_y 0
		.amdhsa_system_sgpr_workgroup_id_z 0
		.amdhsa_system_sgpr_workgroup_info 0
		.amdhsa_system_vgpr_workitem_id 0
		.amdhsa_next_free_vgpr 17
		.amdhsa_next_free_sgpr 42
		.amdhsa_reserve_vcc 1
		.amdhsa_reserve_flat_scratch 0
		.amdhsa_float_round_mode_32 0
		.amdhsa_float_round_mode_16_64 0
		.amdhsa_float_denorm_mode_32 3
		.amdhsa_float_denorm_mode_16_64 3
		.amdhsa_dx10_clamp 1
		.amdhsa_ieee_mode 1
		.amdhsa_fp16_overflow 0
		.amdhsa_exception_fp_ieee_invalid_op 0
		.amdhsa_exception_fp_denorm_src 0
		.amdhsa_exception_fp_ieee_div_zero 0
		.amdhsa_exception_fp_ieee_overflow 0
		.amdhsa_exception_fp_ieee_underflow 0
		.amdhsa_exception_fp_ieee_inexact 0
		.amdhsa_exception_int_div_zero 0
	.end_amdhsa_kernel
	.section	.text._ZN9rocsparseL19coomvn_atomic_loopsILj256ELj2El18rocsparse_bfloat16S1_ffEEvlNS_24const_host_device_scalarIT5_EEPKT1_S7_PKT2_PKT3_PT4_21rocsparse_index_base_b,"axG",@progbits,_ZN9rocsparseL19coomvn_atomic_loopsILj256ELj2El18rocsparse_bfloat16S1_ffEEvlNS_24const_host_device_scalarIT5_EEPKT1_S7_PKT2_PKT3_PT4_21rocsparse_index_base_b,comdat
.Lfunc_end75:
	.size	_ZN9rocsparseL19coomvn_atomic_loopsILj256ELj2El18rocsparse_bfloat16S1_ffEEvlNS_24const_host_device_scalarIT5_EEPKT1_S7_PKT2_PKT3_PT4_21rocsparse_index_base_b, .Lfunc_end75-_ZN9rocsparseL19coomvn_atomic_loopsILj256ELj2El18rocsparse_bfloat16S1_ffEEvlNS_24const_host_device_scalarIT5_EEPKT1_S7_PKT2_PKT3_PT4_21rocsparse_index_base_b
                                        ; -- End function
	.set _ZN9rocsparseL19coomvn_atomic_loopsILj256ELj2El18rocsparse_bfloat16S1_ffEEvlNS_24const_host_device_scalarIT5_EEPKT1_S7_PKT2_PKT3_PT4_21rocsparse_index_base_b.num_vgpr, 17
	.set _ZN9rocsparseL19coomvn_atomic_loopsILj256ELj2El18rocsparse_bfloat16S1_ffEEvlNS_24const_host_device_scalarIT5_EEPKT1_S7_PKT2_PKT3_PT4_21rocsparse_index_base_b.num_agpr, 0
	.set _ZN9rocsparseL19coomvn_atomic_loopsILj256ELj2El18rocsparse_bfloat16S1_ffEEvlNS_24const_host_device_scalarIT5_EEPKT1_S7_PKT2_PKT3_PT4_21rocsparse_index_base_b.numbered_sgpr, 42
	.set _ZN9rocsparseL19coomvn_atomic_loopsILj256ELj2El18rocsparse_bfloat16S1_ffEEvlNS_24const_host_device_scalarIT5_EEPKT1_S7_PKT2_PKT3_PT4_21rocsparse_index_base_b.num_named_barrier, 0
	.set _ZN9rocsparseL19coomvn_atomic_loopsILj256ELj2El18rocsparse_bfloat16S1_ffEEvlNS_24const_host_device_scalarIT5_EEPKT1_S7_PKT2_PKT3_PT4_21rocsparse_index_base_b.private_seg_size, 0
	.set _ZN9rocsparseL19coomvn_atomic_loopsILj256ELj2El18rocsparse_bfloat16S1_ffEEvlNS_24const_host_device_scalarIT5_EEPKT1_S7_PKT2_PKT3_PT4_21rocsparse_index_base_b.uses_vcc, 1
	.set _ZN9rocsparseL19coomvn_atomic_loopsILj256ELj2El18rocsparse_bfloat16S1_ffEEvlNS_24const_host_device_scalarIT5_EEPKT1_S7_PKT2_PKT3_PT4_21rocsparse_index_base_b.uses_flat_scratch, 0
	.set _ZN9rocsparseL19coomvn_atomic_loopsILj256ELj2El18rocsparse_bfloat16S1_ffEEvlNS_24const_host_device_scalarIT5_EEPKT1_S7_PKT2_PKT3_PT4_21rocsparse_index_base_b.has_dyn_sized_stack, 0
	.set _ZN9rocsparseL19coomvn_atomic_loopsILj256ELj2El18rocsparse_bfloat16S1_ffEEvlNS_24const_host_device_scalarIT5_EEPKT1_S7_PKT2_PKT3_PT4_21rocsparse_index_base_b.has_recursion, 0
	.set _ZN9rocsparseL19coomvn_atomic_loopsILj256ELj2El18rocsparse_bfloat16S1_ffEEvlNS_24const_host_device_scalarIT5_EEPKT1_S7_PKT2_PKT3_PT4_21rocsparse_index_base_b.has_indirect_call, 0
	.section	.AMDGPU.csdata,"",@progbits
; Kernel info:
; codeLenInByte = 2568
; TotalNumSgprs: 46
; NumVgprs: 17
; ScratchSize: 0
; MemoryBound: 0
; FloatMode: 240
; IeeeMode: 1
; LDSByteSize: 3072 bytes/workgroup (compile time only)
; SGPRBlocks: 5
; VGPRBlocks: 4
; NumSGPRsForWavesPerEU: 46
; NumVGPRsForWavesPerEU: 17
; Occupancy: 10
; WaveLimiterHint : 1
; COMPUTE_PGM_RSRC2:SCRATCH_EN: 0
; COMPUTE_PGM_RSRC2:USER_SGPR: 6
; COMPUTE_PGM_RSRC2:TRAP_HANDLER: 0
; COMPUTE_PGM_RSRC2:TGID_X_EN: 1
; COMPUTE_PGM_RSRC2:TGID_Y_EN: 0
; COMPUTE_PGM_RSRC2:TGID_Z_EN: 0
; COMPUTE_PGM_RSRC2:TIDIG_COMP_CNT: 0
	.section	.text._ZN9rocsparseL22coomvn_segmented_loopsILj256Eif21rocsparse_complex_numIfES2_S2_EEvlT0_NS_24const_host_device_scalarIT4_EEPKS3_S8_PKT1_PKT2_PT3_PS3_PS5_21rocsparse_index_base_b,"axG",@progbits,_ZN9rocsparseL22coomvn_segmented_loopsILj256Eif21rocsparse_complex_numIfES2_S2_EEvlT0_NS_24const_host_device_scalarIT4_EEPKS3_S8_PKT1_PKT2_PT3_PS3_PS5_21rocsparse_index_base_b,comdat
	.globl	_ZN9rocsparseL22coomvn_segmented_loopsILj256Eif21rocsparse_complex_numIfES2_S2_EEvlT0_NS_24const_host_device_scalarIT4_EEPKS3_S8_PKT1_PKT2_PT3_PS3_PS5_21rocsparse_index_base_b ; -- Begin function _ZN9rocsparseL22coomvn_segmented_loopsILj256Eif21rocsparse_complex_numIfES2_S2_EEvlT0_NS_24const_host_device_scalarIT4_EEPKS3_S8_PKT1_PKT2_PT3_PS3_PS5_21rocsparse_index_base_b
	.p2align	8
	.type	_ZN9rocsparseL22coomvn_segmented_loopsILj256Eif21rocsparse_complex_numIfES2_S2_EEvlT0_NS_24const_host_device_scalarIT4_EEPKS3_S8_PKT1_PKT2_PT3_PS3_PS5_21rocsparse_index_base_b,@function
_ZN9rocsparseL22coomvn_segmented_loopsILj256Eif21rocsparse_complex_numIfES2_S2_EEvlT0_NS_24const_host_device_scalarIT4_EEPKS3_S8_PKT1_PKT2_PT3_PS3_PS5_21rocsparse_index_base_b: ; @_ZN9rocsparseL22coomvn_segmented_loopsILj256Eif21rocsparse_complex_numIfES2_S2_EEvlT0_NS_24const_host_device_scalarIT4_EEPKS3_S8_PKT1_PKT2_PT3_PS3_PS5_21rocsparse_index_base_b
; %bb.0:
	s_load_dwordx2 s[28:29], s[4:5], 0x50
	s_load_dwordx2 s[0:1], s[4:5], 0x10
	s_add_u32 s2, s4, 16
	s_addc_u32 s3, s5, 0
	s_waitcnt lgkmcnt(0)
	s_bitcmp1_b32 s29, 0
	s_cselect_b32 s1, s3, s1
	s_cselect_b32 s0, s2, s0
	v_mov_b32_e32 v1, s0
	v_mov_b32_e32 v2, s1
	flat_load_dwordx2 v[1:2], v[1:2]
	s_waitcnt vmcnt(0) lgkmcnt(0)
	v_cmp_neq_f32_e32 vcc, 0, v1
	v_cmp_neq_f32_e64 s[0:1], 0, v2
	s_or_b64 s[0:1], vcc, s[0:1]
	s_and_saveexec_b64 s[2:3], s[0:1]
	s_cbranch_execz .LBB76_87
; %bb.1:
	s_load_dword s33, s[4:5], 0x8
	s_load_dwordx2 s[30:31], s[4:5], 0x0
	s_load_dwordx8 s[36:43], s[4:5], 0x18
	v_mov_b32_e32 v14, 0
	v_mov_b32_e32 v3, -1
	s_waitcnt lgkmcnt(0)
	s_mul_i32 s0, s6, s33
	v_lshl_or_b32 v13, s0, 8, v0
	v_cmp_gt_i64_e32 vcc, s[30:31], v[13:14]
	v_lshlrev_b64 v[7:8], 2, v[13:14]
	v_mov_b32_e32 v5, v14
	v_mov_b32_e32 v6, v14
	s_and_saveexec_b64 s[0:1], vcc
	s_cbranch_execz .LBB76_3
; %bb.2:
	v_mov_b32_e32 v4, s39
	v_add_co_u32_e32 v3, vcc, s38, v7
	v_addc_co_u32_e32 v4, vcc, v4, v8, vcc
	global_load_dword v3, v[3:4], off glc slc
	v_mov_b32_e32 v5, s37
	v_add_co_u32_e32 v4, vcc, s36, v7
	v_addc_co_u32_e32 v5, vcc, v5, v8, vcc
	global_load_dword v5, v[4:5], off glc slc
	v_mov_b32_e32 v6, s41
	v_add_co_u32_e32 v9, vcc, s40, v7
	v_addc_co_u32_e32 v10, vcc, v6, v8, vcc
	v_mov_b32_e32 v11, s43
	s_ashr_i32 s29, s28, 31
	s_lshl_b64 s[2:3], s[28:29], 3
	v_mov_b32_e32 v6, s3
	s_waitcnt vmcnt(1)
	v_ashrrev_i32_e32 v4, 31, v3
	v_lshlrev_b64 v[3:4], 3, v[3:4]
	v_add_co_u32_e32 v3, vcc, s42, v3
	v_addc_co_u32_e32 v4, vcc, v11, v4, vcc
	v_subrev_co_u32_e32 v3, vcc, s2, v3
	v_subb_co_u32_e32 v4, vcc, v4, v6, vcc
	global_load_dwordx2 v[11:12], v[3:4], off
	global_load_dword v14, v[9:10], off glc slc
	s_waitcnt vmcnt(2)
	v_subrev_u32_e32 v3, s28, v5
	s_waitcnt vmcnt(1)
	v_mul_f32_e32 v5, 0x80000000, v12
	s_waitcnt vmcnt(0)
	v_mul_f32_e32 v6, v14, v12
	v_fmac_f32_e32 v5, v14, v11
	v_fmac_f32_e32 v6, 0, v11
.LBB76_3:
	s_or_b64 exec, exec, s[0:1]
	v_lshlrev_b32_e32 v4, 2, v0
	v_or_b32_e32 v15, 0x800, v4
	v_lshlrev_b32_e32 v16, 3, v0
	v_cmp_eq_u32_e64 s[0:1], 0, v0
	v_cmp_ne_u32_e64 s[2:3], 0, v0
	v_add_u32_e32 v17, -4, v15
	ds_write_b32 v4, v3 offset:2048
	ds_write_b64 v16, v[5:6]
	s_waitcnt lgkmcnt(0)
	s_barrier
	s_and_saveexec_b64 s[8:9], s[2:3]
	s_cbranch_execz .LBB76_7
; %bb.4:
	ds_read_b32 v4, v17
	s_waitcnt lgkmcnt(0)
	v_cmp_eq_u32_e32 vcc, v3, v4
	s_and_saveexec_b64 s[10:11], vcc
	s_cbranch_execz .LBB76_6
; %bb.5:
	v_add_u32_e32 v4, -8, v16
	ds_read_b64 v[9:10], v4
	s_waitcnt lgkmcnt(0)
	v_add_f32_e32 v5, v5, v9
	v_add_f32_e32 v6, v6, v10
.LBB76_6:
	s_or_b64 exec, exec, s[10:11]
.LBB76_7:
	s_or_b64 exec, exec, s[8:9]
	v_cmp_lt_u32_e64 s[22:23], 1, v0
	v_add_u32_e32 v18, -8, v15
	s_barrier
	ds_write_b64 v16, v[5:6]
	s_waitcnt lgkmcnt(0)
	s_barrier
	s_and_saveexec_b64 s[8:9], s[22:23]
	s_cbranch_execz .LBB76_11
; %bb.8:
	ds_read_b32 v4, v18
	s_waitcnt lgkmcnt(0)
	v_cmp_eq_u32_e32 vcc, v3, v4
	s_and_saveexec_b64 s[10:11], vcc
	s_cbranch_execz .LBB76_10
; %bb.9:
	v_add_u32_e32 v4, -16, v16
	ds_read_b64 v[9:10], v4
	s_waitcnt lgkmcnt(0)
	v_add_f32_e32 v5, v5, v9
	v_add_f32_e32 v6, v6, v10
.LBB76_10:
	s_or_b64 exec, exec, s[10:11]
.LBB76_11:
	s_or_b64 exec, exec, s[8:9]
	v_cmp_lt_u32_e64 s[8:9], 3, v0
	v_add_u32_e32 v19, -16, v15
	s_barrier
	ds_write_b64 v16, v[5:6]
	s_waitcnt lgkmcnt(0)
	s_barrier
	s_and_saveexec_b64 s[10:11], s[8:9]
	s_cbranch_execz .LBB76_15
; %bb.12:
	ds_read_b32 v4, v19
	s_waitcnt lgkmcnt(0)
	v_cmp_eq_u32_e32 vcc, v3, v4
	s_and_saveexec_b64 s[12:13], vcc
	s_cbranch_execz .LBB76_14
; %bb.13:
	v_subrev_u32_e32 v4, 32, v16
	ds_read_b64 v[9:10], v4
	s_waitcnt lgkmcnt(0)
	v_add_f32_e32 v5, v5, v9
	v_add_f32_e32 v6, v6, v10
.LBB76_14:
	s_or_b64 exec, exec, s[12:13]
.LBB76_15:
	s_or_b64 exec, exec, s[10:11]
	v_cmp_lt_u32_e64 s[10:11], 7, v0
	v_subrev_u32_e32 v20, 32, v15
	s_barrier
	ds_write_b64 v16, v[5:6]
	s_waitcnt lgkmcnt(0)
	s_barrier
	s_and_saveexec_b64 s[12:13], s[10:11]
	s_cbranch_execz .LBB76_19
; %bb.16:
	ds_read_b32 v4, v20
	s_waitcnt lgkmcnt(0)
	v_cmp_eq_u32_e32 vcc, v3, v4
	s_and_saveexec_b64 s[14:15], vcc
	s_cbranch_execz .LBB76_18
; %bb.17:
	v_subrev_u32_e32 v4, 64, v16
	ds_read_b64 v[9:10], v4
	s_waitcnt lgkmcnt(0)
	v_add_f32_e32 v5, v5, v9
	v_add_f32_e32 v6, v6, v10
.LBB76_18:
	s_or_b64 exec, exec, s[14:15]
.LBB76_19:
	s_or_b64 exec, exec, s[12:13]
	v_cmp_lt_u32_e64 s[12:13], 15, v0
	v_subrev_u32_e32 v21, 64, v15
	s_barrier
	ds_write_b64 v16, v[5:6]
	s_waitcnt lgkmcnt(0)
	s_barrier
	s_and_saveexec_b64 s[14:15], s[12:13]
	s_cbranch_execz .LBB76_23
; %bb.20:
	ds_read_b32 v4, v21
	s_waitcnt lgkmcnt(0)
	v_cmp_eq_u32_e32 vcc, v3, v4
	s_and_saveexec_b64 s[16:17], vcc
	s_cbranch_execz .LBB76_22
; %bb.21:
	v_add_u32_e32 v4, 0xffffff80, v16
	ds_read_b64 v[9:10], v4
	s_waitcnt lgkmcnt(0)
	v_add_f32_e32 v5, v5, v9
	v_add_f32_e32 v6, v6, v10
.LBB76_22:
	s_or_b64 exec, exec, s[16:17]
.LBB76_23:
	s_or_b64 exec, exec, s[14:15]
	v_cmp_lt_u32_e64 s[14:15], 31, v0
	s_barrier
	ds_write_b64 v16, v[5:6]
	s_waitcnt lgkmcnt(0)
	s_barrier
	s_and_saveexec_b64 s[16:17], s[14:15]
	s_cbranch_execz .LBB76_27
; %bb.24:
	v_add_u32_e32 v4, 0xffffff80, v15
	ds_read_b32 v4, v4
	s_waitcnt lgkmcnt(0)
	v_cmp_eq_u32_e32 vcc, v3, v4
	s_and_saveexec_b64 s[18:19], vcc
	s_cbranch_execz .LBB76_26
; %bb.25:
	v_add_u32_e32 v4, 0xffffff00, v16
	ds_read_b64 v[9:10], v4
	s_waitcnt lgkmcnt(0)
	v_add_f32_e32 v5, v5, v9
	v_add_f32_e32 v6, v6, v10
.LBB76_26:
	s_or_b64 exec, exec, s[18:19]
.LBB76_27:
	s_or_b64 exec, exec, s[16:17]
	v_cmp_lt_u32_e64 s[16:17], 63, v0
	s_barrier
	ds_write_b64 v16, v[5:6]
	s_waitcnt lgkmcnt(0)
	s_barrier
	s_and_saveexec_b64 s[18:19], s[16:17]
	s_cbranch_execz .LBB76_31
; %bb.28:
	v_add_u32_e32 v4, 0xffffff00, v15
	ds_read_b32 v4, v4
	s_waitcnt lgkmcnt(0)
	v_cmp_eq_u32_e32 vcc, v3, v4
	s_and_saveexec_b64 s[20:21], vcc
	s_cbranch_execz .LBB76_30
; %bb.29:
	v_add_u32_e32 v4, 0xfffffe00, v16
	ds_read_b64 v[9:10], v4
	s_waitcnt lgkmcnt(0)
	v_add_f32_e32 v5, v5, v9
	v_add_f32_e32 v6, v6, v10
.LBB76_30:
	s_or_b64 exec, exec, s[20:21]
.LBB76_31:
	s_or_b64 exec, exec, s[18:19]
	s_load_dwordx2 s[34:35], s[4:5], 0x38
	s_movk_i32 s7, 0x7f
	v_cmp_lt_u32_e64 s[18:19], s7, v0
	s_waitcnt lgkmcnt(0)
	s_barrier
	ds_write_b64 v16, v[5:6]
	s_waitcnt lgkmcnt(0)
	s_barrier
	s_and_saveexec_b64 s[20:21], s[18:19]
	s_cbranch_execz .LBB76_35
; %bb.32:
	v_add_u32_e32 v4, 0xfffffe00, v15
	ds_read_b32 v4, v4
	s_waitcnt lgkmcnt(0)
	v_cmp_eq_u32_e32 vcc, v3, v4
	s_and_saveexec_b64 s[24:25], vcc
	s_cbranch_execz .LBB76_34
; %bb.33:
	v_add_u32_e32 v4, 0xfffffc00, v16
	ds_read_b64 v[9:10], v4
	s_waitcnt lgkmcnt(0)
	v_add_f32_e32 v5, v5, v9
	v_add_f32_e32 v6, v6, v10
.LBB76_34:
	s_or_b64 exec, exec, s[24:25]
.LBB76_35:
	s_or_b64 exec, exec, s[20:21]
	s_movk_i32 s7, 0xff
	v_cmp_gt_u32_e64 s[20:21], s7, v0
	s_barrier
	ds_write_b64 v16, v[5:6]
	s_waitcnt lgkmcnt(0)
	s_barrier
	s_and_saveexec_b64 s[26:27], s[20:21]
	s_cbranch_execz .LBB76_38
; %bb.36:
	ds_read_b32 v4, v15 offset:4
	v_cmp_lt_i32_e64 s[24:25], -1, v3
	s_waitcnt lgkmcnt(0)
	v_cmp_ne_u32_e32 vcc, v3, v4
	s_and_b64 s[24:25], s[24:25], vcc
	s_and_b64 exec, exec, s[24:25]
	s_cbranch_execz .LBB76_38
; %bb.37:
	v_mov_b32_e32 v4, 0
	v_lshlrev_b64 v[9:10], 3, v[3:4]
	v_mov_b32_e32 v4, s35
	v_add_co_u32_e32 v9, vcc, s34, v9
	v_addc_co_u32_e32 v10, vcc, v4, v10, vcc
	global_load_dwordx2 v[11:12], v[9:10], off
	s_waitcnt vmcnt(0)
	v_fma_f32 v4, v1, v5, v11
	v_fmac_f32_e32 v12, v2, v5
	v_fma_f32 v11, -v2, v6, v4
	v_fmac_f32_e32 v12, v1, v6
	global_store_dwordx2 v[9:10], v[11:12], off
.LBB76_38:
	s_or_b64 exec, exec, s[26:27]
	s_load_dwordx4 s[24:27], s[4:5], 0x40
	s_cmp_lt_i32 s33, 2
	s_cbranch_scc1 .LBB76_85
; %bb.39:
	s_ashr_i32 s29, s28, 31
	s_lshl_b64 s[4:5], s[28:29], 3
	s_sub_u32 s7, s42, s4
	s_movk_i32 s4, 0x400
	v_add_co_u32_e32 v3, vcc, s4, v7
	v_addc_co_u32_e32 v4, vcc, 0, v8, vcc
	v_mov_b32_e32 v5, s39
	v_add_co_u32_e32 v7, vcc, s38, v3
	v_addc_co_u32_e32 v8, vcc, v5, v4, vcc
	v_mov_b32_e32 v5, s41
	;; [unrolled: 3-line block ×3, first 2 shown]
	v_add_co_u32_e32 v11, vcc, s36, v3
	v_addc_co_u32_e32 v12, vcc, v5, v4, vcc
	s_movk_i32 s4, 0x100
	v_add_co_u32_e32 v13, vcc, s4, v13
	s_subb_u32 s29, s43, s5
	v_subrev_u32_e32 v22, 32, v16
	v_subrev_u32_e32 v23, 64, v16
	v_add_u32_e32 v24, 0xffffff80, v16
	v_add_u32_e32 v25, 0xffffff80, v15
	;; [unrolled: 1-line block ×6, first 2 shown]
	v_addc_co_u32_e64 v14, s[4:5], 0, 0, vcc
	s_add_i32 s33, s33, -1
	s_mov_b32 s37, 0
	v_add_u32_e32 v30, 0xfffffc00, v16
	v_mov_b32_e32 v4, 0
	s_branch .LBB76_41
.LBB76_40:                              ;   in Loop: Header=BB76_41 Depth=1
	s_or_b64 exec, exec, s[38:39]
	v_add_co_u32_e32 v7, vcc, 0x400, v7
	v_addc_co_u32_e32 v8, vcc, 0, v8, vcc
	v_add_co_u32_e32 v9, vcc, 0x400, v9
	v_addc_co_u32_e32 v10, vcc, 0, v10, vcc
	;; [unrolled: 2-line block ×3, first 2 shown]
	v_add_co_u32_e32 v13, vcc, 0x100, v13
	s_add_i32 s33, s33, -1
	s_cmp_eq_u32 s33, 0
	v_addc_co_u32_e32 v14, vcc, 0, v14, vcc
	s_cbranch_scc1 .LBB76_85
.LBB76_41:                              ; =>This Inner Loop Header: Depth=1
	v_cmp_gt_i64_e32 vcc, s[30:31], v[13:14]
	v_mov_b32_e32 v3, -1
	v_mov_b32_e32 v5, 0
	v_mov_b32_e32 v6, 0
	s_and_saveexec_b64 s[4:5], vcc
	s_cbranch_execz .LBB76_43
; %bb.42:                               ;   in Loop: Header=BB76_41 Depth=1
	global_load_dword v5, v[7:8], off glc slc
	global_load_dword v3, v[11:12], off glc slc
	v_mov_b32_e32 v31, s29
	s_waitcnt vmcnt(1)
	v_ashrrev_i32_e32 v6, 31, v5
	v_lshlrev_b64 v[5:6], 3, v[5:6]
	s_waitcnt vmcnt(0)
	v_subrev_u32_e32 v3, s28, v3
	v_add_co_u32_e32 v5, vcc, s7, v5
	v_addc_co_u32_e32 v6, vcc, v31, v6, vcc
	global_load_dwordx2 v[31:32], v[5:6], off
	global_load_dword v33, v[9:10], off glc slc
	s_waitcnt vmcnt(1)
	v_mul_f32_e32 v5, 0x80000000, v32
	s_waitcnt vmcnt(0)
	v_mul_f32_e32 v6, v33, v32
	v_fmac_f32_e32 v5, v33, v31
	v_fmac_f32_e32 v6, 0, v31
.LBB76_43:                              ;   in Loop: Header=BB76_41 Depth=1
	s_or_b64 exec, exec, s[4:5]
	s_and_saveexec_b64 s[4:5], s[0:1]
	s_cbranch_execz .LBB76_50
; %bb.44:                               ;   in Loop: Header=BB76_41 Depth=1
	ds_read_b32 v31, v4 offset:3068
	s_waitcnt lgkmcnt(0)
	v_readfirstlane_b32 s36, v31
	v_cmp_ne_u32_e32 vcc, v3, v31
	s_and_saveexec_b64 s[38:39], vcc
	s_xor_b64 s[38:39], exec, s[38:39]
	s_cbranch_execz .LBB76_47
; %bb.45:                               ;   in Loop: Header=BB76_41 Depth=1
	s_cmp_lt_i32 s36, 0
	s_cbranch_scc1 .LBB76_47
; %bb.46:                               ;   in Loop: Header=BB76_41 Depth=1
	s_lshl_b64 s[40:41], s[36:37], 3
	s_add_u32 s40, s34, s40
	s_addc_u32 s41, s35, s41
	global_load_dwordx2 v[31:32], v4, s[40:41]
	ds_read_b64 v[33:34], v4 offset:2040
	s_waitcnt vmcnt(0) lgkmcnt(0)
	v_fma_f32 v31, v1, v33, v31
	v_fmac_f32_e32 v32, v2, v33
	v_fma_f32 v31, -v2, v34, v31
	v_fmac_f32_e32 v32, v1, v34
	global_store_dwordx2 v4, v[31:32], s[40:41]
.LBB76_47:                              ;   in Loop: Header=BB76_41 Depth=1
	s_andn2_saveexec_b64 s[38:39], s[38:39]
	s_cbranch_execz .LBB76_49
; %bb.48:                               ;   in Loop: Header=BB76_41 Depth=1
	ds_read_b64 v[31:32], v4 offset:2040
	s_waitcnt lgkmcnt(0)
	v_add_f32_e32 v5, v5, v31
	v_add_f32_e32 v6, v6, v32
.LBB76_49:                              ;   in Loop: Header=BB76_41 Depth=1
	s_or_b64 exec, exec, s[38:39]
.LBB76_50:                              ;   in Loop: Header=BB76_41 Depth=1
	s_or_b64 exec, exec, s[4:5]
	s_waitcnt vmcnt(0) lgkmcnt(0)
	s_barrier
	ds_write_b32 v15, v3
	ds_write_b64 v16, v[5:6]
	s_waitcnt lgkmcnt(0)
	s_barrier
	s_and_saveexec_b64 s[4:5], s[2:3]
	s_cbranch_execz .LBB76_54
; %bb.51:                               ;   in Loop: Header=BB76_41 Depth=1
	ds_read_b32 v31, v17
	s_waitcnt lgkmcnt(0)
	v_cmp_eq_u32_e32 vcc, v3, v31
	s_and_saveexec_b64 s[38:39], vcc
	s_cbranch_execz .LBB76_53
; %bb.52:                               ;   in Loop: Header=BB76_41 Depth=1
	v_add_u32_e32 v31, -8, v16
	ds_read_b64 v[31:32], v31
	s_waitcnt lgkmcnt(0)
	v_add_f32_e32 v5, v5, v31
	v_add_f32_e32 v6, v6, v32
.LBB76_53:                              ;   in Loop: Header=BB76_41 Depth=1
	s_or_b64 exec, exec, s[38:39]
.LBB76_54:                              ;   in Loop: Header=BB76_41 Depth=1
	s_or_b64 exec, exec, s[4:5]
	s_barrier
	ds_write_b64 v16, v[5:6]
	s_waitcnt lgkmcnt(0)
	s_barrier
	s_and_saveexec_b64 s[4:5], s[22:23]
	s_cbranch_execz .LBB76_58
; %bb.55:                               ;   in Loop: Header=BB76_41 Depth=1
	ds_read_b32 v31, v18
	s_waitcnt lgkmcnt(0)
	v_cmp_eq_u32_e32 vcc, v3, v31
	s_and_saveexec_b64 s[38:39], vcc
	s_cbranch_execz .LBB76_57
; %bb.56:                               ;   in Loop: Header=BB76_41 Depth=1
	v_add_u32_e32 v31, -16, v16
	ds_read_b64 v[31:32], v31
	s_waitcnt lgkmcnt(0)
	v_add_f32_e32 v5, v5, v31
	v_add_f32_e32 v6, v6, v32
.LBB76_57:                              ;   in Loop: Header=BB76_41 Depth=1
	s_or_b64 exec, exec, s[38:39]
.LBB76_58:                              ;   in Loop: Header=BB76_41 Depth=1
	s_or_b64 exec, exec, s[4:5]
	s_barrier
	ds_write_b64 v16, v[5:6]
	s_waitcnt lgkmcnt(0)
	s_barrier
	s_and_saveexec_b64 s[4:5], s[8:9]
	s_cbranch_execz .LBB76_62
; %bb.59:                               ;   in Loop: Header=BB76_41 Depth=1
	ds_read_b32 v31, v19
	s_waitcnt lgkmcnt(0)
	v_cmp_eq_u32_e32 vcc, v3, v31
	s_and_saveexec_b64 s[38:39], vcc
	s_cbranch_execz .LBB76_61
; %bb.60:                               ;   in Loop: Header=BB76_41 Depth=1
	ds_read_b64 v[31:32], v22
	s_waitcnt lgkmcnt(0)
	v_add_f32_e32 v5, v5, v31
	v_add_f32_e32 v6, v6, v32
.LBB76_61:                              ;   in Loop: Header=BB76_41 Depth=1
	s_or_b64 exec, exec, s[38:39]
.LBB76_62:                              ;   in Loop: Header=BB76_41 Depth=1
	s_or_b64 exec, exec, s[4:5]
	s_barrier
	ds_write_b64 v16, v[5:6]
	s_waitcnt lgkmcnt(0)
	s_barrier
	s_and_saveexec_b64 s[4:5], s[10:11]
	s_cbranch_execz .LBB76_66
; %bb.63:                               ;   in Loop: Header=BB76_41 Depth=1
	ds_read_b32 v31, v20
	s_waitcnt lgkmcnt(0)
	v_cmp_eq_u32_e32 vcc, v3, v31
	s_and_saveexec_b64 s[38:39], vcc
	s_cbranch_execz .LBB76_65
; %bb.64:                               ;   in Loop: Header=BB76_41 Depth=1
	ds_read_b64 v[31:32], v23
	s_waitcnt lgkmcnt(0)
	v_add_f32_e32 v5, v5, v31
	v_add_f32_e32 v6, v6, v32
.LBB76_65:                              ;   in Loop: Header=BB76_41 Depth=1
	s_or_b64 exec, exec, s[38:39]
.LBB76_66:                              ;   in Loop: Header=BB76_41 Depth=1
	;; [unrolled: 21-line block ×6, first 2 shown]
	s_or_b64 exec, exec, s[4:5]
	s_barrier
	ds_write_b64 v16, v[5:6]
	s_waitcnt lgkmcnt(0)
	s_barrier
	s_and_saveexec_b64 s[38:39], s[20:21]
	s_cbranch_execz .LBB76_40
; %bb.83:                               ;   in Loop: Header=BB76_41 Depth=1
	ds_read_b32 v31, v15 offset:4
	v_cmp_lt_i32_e64 s[4:5], -1, v3
	s_waitcnt lgkmcnt(0)
	v_cmp_ne_u32_e32 vcc, v3, v31
	s_and_b64 s[4:5], s[4:5], vcc
	s_and_b64 exec, exec, s[4:5]
	s_cbranch_execz .LBB76_40
; %bb.84:                               ;   in Loop: Header=BB76_41 Depth=1
	v_lshlrev_b64 v[31:32], 3, v[3:4]
	v_mov_b32_e32 v33, s35
	v_add_co_u32_e32 v31, vcc, s34, v31
	v_addc_co_u32_e32 v32, vcc, v33, v32, vcc
	global_load_dwordx2 v[33:34], v[31:32], off
	s_waitcnt vmcnt(0)
	v_fma_f32 v33, v1, v5, v33
	v_fmac_f32_e32 v34, v2, v5
	v_fma_f32 v33, -v2, v6, v33
	v_fmac_f32_e32 v34, v1, v6
	global_store_dwordx2 v[31:32], v[33:34], off
	s_branch .LBB76_40
.LBB76_85:
	s_movk_i32 s0, 0xff
	v_cmp_eq_u32_e32 vcc, s0, v0
	s_and_b64 exec, exec, vcc
	s_cbranch_execz .LBB76_87
; %bb.86:
	s_mov_b32 s7, 0
	s_lshl_b64 s[0:1], s[6:7], 3
	s_waitcnt lgkmcnt(0)
	s_add_u32 s0, s26, s0
	s_addc_u32 s1, s27, s1
	s_lshl_b64 s[2:3], s[6:7], 2
	s_add_u32 s2, s24, s2
	v_mov_b32_e32 v0, 0
	v_mul_f32_e32 v7, v1, v6
	v_mul_f32_e64 v6, v6, -v2
	s_addc_u32 s3, s25, s3
	v_fmac_f32_e32 v7, v2, v5
	v_fmac_f32_e32 v6, v1, v5
	global_store_dword v0, v3, s[2:3] glc slc
	global_store_dwordx2 v0, v[6:7], s[0:1] glc slc
.LBB76_87:
	s_endpgm
	.section	.rodata,"a",@progbits
	.p2align	6, 0x0
	.amdhsa_kernel _ZN9rocsparseL22coomvn_segmented_loopsILj256Eif21rocsparse_complex_numIfES2_S2_EEvlT0_NS_24const_host_device_scalarIT4_EEPKS3_S8_PKT1_PKT2_PT3_PS3_PS5_21rocsparse_index_base_b
		.amdhsa_group_segment_fixed_size 3072
		.amdhsa_private_segment_fixed_size 0
		.amdhsa_kernarg_size 88
		.amdhsa_user_sgpr_count 6
		.amdhsa_user_sgpr_private_segment_buffer 1
		.amdhsa_user_sgpr_dispatch_ptr 0
		.amdhsa_user_sgpr_queue_ptr 0
		.amdhsa_user_sgpr_kernarg_segment_ptr 1
		.amdhsa_user_sgpr_dispatch_id 0
		.amdhsa_user_sgpr_flat_scratch_init 0
		.amdhsa_user_sgpr_private_segment_size 0
		.amdhsa_uses_dynamic_stack 0
		.amdhsa_system_sgpr_private_segment_wavefront_offset 0
		.amdhsa_system_sgpr_workgroup_id_x 1
		.amdhsa_system_sgpr_workgroup_id_y 0
		.amdhsa_system_sgpr_workgroup_id_z 0
		.amdhsa_system_sgpr_workgroup_info 0
		.amdhsa_system_vgpr_workitem_id 0
		.amdhsa_next_free_vgpr 35
		.amdhsa_next_free_sgpr 44
		.amdhsa_reserve_vcc 1
		.amdhsa_reserve_flat_scratch 0
		.amdhsa_float_round_mode_32 0
		.amdhsa_float_round_mode_16_64 0
		.amdhsa_float_denorm_mode_32 3
		.amdhsa_float_denorm_mode_16_64 3
		.amdhsa_dx10_clamp 1
		.amdhsa_ieee_mode 1
		.amdhsa_fp16_overflow 0
		.amdhsa_exception_fp_ieee_invalid_op 0
		.amdhsa_exception_fp_denorm_src 0
		.amdhsa_exception_fp_ieee_div_zero 0
		.amdhsa_exception_fp_ieee_overflow 0
		.amdhsa_exception_fp_ieee_underflow 0
		.amdhsa_exception_fp_ieee_inexact 0
		.amdhsa_exception_int_div_zero 0
	.end_amdhsa_kernel
	.section	.text._ZN9rocsparseL22coomvn_segmented_loopsILj256Eif21rocsparse_complex_numIfES2_S2_EEvlT0_NS_24const_host_device_scalarIT4_EEPKS3_S8_PKT1_PKT2_PT3_PS3_PS5_21rocsparse_index_base_b,"axG",@progbits,_ZN9rocsparseL22coomvn_segmented_loopsILj256Eif21rocsparse_complex_numIfES2_S2_EEvlT0_NS_24const_host_device_scalarIT4_EEPKS3_S8_PKT1_PKT2_PT3_PS3_PS5_21rocsparse_index_base_b,comdat
.Lfunc_end76:
	.size	_ZN9rocsparseL22coomvn_segmented_loopsILj256Eif21rocsparse_complex_numIfES2_S2_EEvlT0_NS_24const_host_device_scalarIT4_EEPKS3_S8_PKT1_PKT2_PT3_PS3_PS5_21rocsparse_index_base_b, .Lfunc_end76-_ZN9rocsparseL22coomvn_segmented_loopsILj256Eif21rocsparse_complex_numIfES2_S2_EEvlT0_NS_24const_host_device_scalarIT4_EEPKS3_S8_PKT1_PKT2_PT3_PS3_PS5_21rocsparse_index_base_b
                                        ; -- End function
	.set _ZN9rocsparseL22coomvn_segmented_loopsILj256Eif21rocsparse_complex_numIfES2_S2_EEvlT0_NS_24const_host_device_scalarIT4_EEPKS3_S8_PKT1_PKT2_PT3_PS3_PS5_21rocsparse_index_base_b.num_vgpr, 35
	.set _ZN9rocsparseL22coomvn_segmented_loopsILj256Eif21rocsparse_complex_numIfES2_S2_EEvlT0_NS_24const_host_device_scalarIT4_EEPKS3_S8_PKT1_PKT2_PT3_PS3_PS5_21rocsparse_index_base_b.num_agpr, 0
	.set _ZN9rocsparseL22coomvn_segmented_loopsILj256Eif21rocsparse_complex_numIfES2_S2_EEvlT0_NS_24const_host_device_scalarIT4_EEPKS3_S8_PKT1_PKT2_PT3_PS3_PS5_21rocsparse_index_base_b.numbered_sgpr, 44
	.set _ZN9rocsparseL22coomvn_segmented_loopsILj256Eif21rocsparse_complex_numIfES2_S2_EEvlT0_NS_24const_host_device_scalarIT4_EEPKS3_S8_PKT1_PKT2_PT3_PS3_PS5_21rocsparse_index_base_b.num_named_barrier, 0
	.set _ZN9rocsparseL22coomvn_segmented_loopsILj256Eif21rocsparse_complex_numIfES2_S2_EEvlT0_NS_24const_host_device_scalarIT4_EEPKS3_S8_PKT1_PKT2_PT3_PS3_PS5_21rocsparse_index_base_b.private_seg_size, 0
	.set _ZN9rocsparseL22coomvn_segmented_loopsILj256Eif21rocsparse_complex_numIfES2_S2_EEvlT0_NS_24const_host_device_scalarIT4_EEPKS3_S8_PKT1_PKT2_PT3_PS3_PS5_21rocsparse_index_base_b.uses_vcc, 1
	.set _ZN9rocsparseL22coomvn_segmented_loopsILj256Eif21rocsparse_complex_numIfES2_S2_EEvlT0_NS_24const_host_device_scalarIT4_EEPKS3_S8_PKT1_PKT2_PT3_PS3_PS5_21rocsparse_index_base_b.uses_flat_scratch, 0
	.set _ZN9rocsparseL22coomvn_segmented_loopsILj256Eif21rocsparse_complex_numIfES2_S2_EEvlT0_NS_24const_host_device_scalarIT4_EEPKS3_S8_PKT1_PKT2_PT3_PS3_PS5_21rocsparse_index_base_b.has_dyn_sized_stack, 0
	.set _ZN9rocsparseL22coomvn_segmented_loopsILj256Eif21rocsparse_complex_numIfES2_S2_EEvlT0_NS_24const_host_device_scalarIT4_EEPKS3_S8_PKT1_PKT2_PT3_PS3_PS5_21rocsparse_index_base_b.has_recursion, 0
	.set _ZN9rocsparseL22coomvn_segmented_loopsILj256Eif21rocsparse_complex_numIfES2_S2_EEvlT0_NS_24const_host_device_scalarIT4_EEPKS3_S8_PKT1_PKT2_PT3_PS3_PS5_21rocsparse_index_base_b.has_indirect_call, 0
	.section	.AMDGPU.csdata,"",@progbits
; Kernel info:
; codeLenInByte = 2700
; TotalNumSgprs: 48
; NumVgprs: 35
; ScratchSize: 0
; MemoryBound: 0
; FloatMode: 240
; IeeeMode: 1
; LDSByteSize: 3072 bytes/workgroup (compile time only)
; SGPRBlocks: 5
; VGPRBlocks: 8
; NumSGPRsForWavesPerEU: 48
; NumVGPRsForWavesPerEU: 35
; Occupancy: 7
; WaveLimiterHint : 1
; COMPUTE_PGM_RSRC2:SCRATCH_EN: 0
; COMPUTE_PGM_RSRC2:USER_SGPR: 6
; COMPUTE_PGM_RSRC2:TRAP_HANDLER: 0
; COMPUTE_PGM_RSRC2:TGID_X_EN: 1
; COMPUTE_PGM_RSRC2:TGID_Y_EN: 0
; COMPUTE_PGM_RSRC2:TGID_Z_EN: 0
; COMPUTE_PGM_RSRC2:TIDIG_COMP_CNT: 0
	.section	.text._ZN9rocsparseL13coomvt_kernelILj1024Eif21rocsparse_complex_numIfES2_S2_EEv20rocsparse_operation_lNS_24const_host_device_scalarIT4_EEPKT0_S9_PKT1_PKT2_PT3_21rocsparse_index_base_b,"axG",@progbits,_ZN9rocsparseL13coomvt_kernelILj1024Eif21rocsparse_complex_numIfES2_S2_EEv20rocsparse_operation_lNS_24const_host_device_scalarIT4_EEPKT0_S9_PKT1_PKT2_PT3_21rocsparse_index_base_b,comdat
	.globl	_ZN9rocsparseL13coomvt_kernelILj1024Eif21rocsparse_complex_numIfES2_S2_EEv20rocsparse_operation_lNS_24const_host_device_scalarIT4_EEPKT0_S9_PKT1_PKT2_PT3_21rocsparse_index_base_b ; -- Begin function _ZN9rocsparseL13coomvt_kernelILj1024Eif21rocsparse_complex_numIfES2_S2_EEv20rocsparse_operation_lNS_24const_host_device_scalarIT4_EEPKT0_S9_PKT1_PKT2_PT3_21rocsparse_index_base_b
	.p2align	8
	.type	_ZN9rocsparseL13coomvt_kernelILj1024Eif21rocsparse_complex_numIfES2_S2_EEv20rocsparse_operation_lNS_24const_host_device_scalarIT4_EEPKT0_S9_PKT1_PKT2_PT3_21rocsparse_index_base_b,@function
_ZN9rocsparseL13coomvt_kernelILj1024Eif21rocsparse_complex_numIfES2_S2_EEv20rocsparse_operation_lNS_24const_host_device_scalarIT4_EEPKT0_S9_PKT1_PKT2_PT3_21rocsparse_index_base_b: ; @_ZN9rocsparseL13coomvt_kernelILj1024Eif21rocsparse_complex_numIfES2_S2_EEv20rocsparse_operation_lNS_24const_host_device_scalarIT4_EEPKT0_S9_PKT1_PKT2_PT3_21rocsparse_index_base_b
; %bb.0:
	s_load_dwordx2 s[2:3], s[4:5], 0x40
	s_load_dwordx4 s[8:11], s[4:5], 0x8
	s_add_u32 s0, s4, 16
	s_addc_u32 s1, s5, 0
	s_waitcnt lgkmcnt(0)
	s_bitcmp1_b32 s3, 0
	s_cselect_b32 s1, s1, s11
	s_cselect_b32 s0, s0, s10
	v_mov_b32_e32 v1, s0
	v_mov_b32_e32 v2, s1
	flat_load_dwordx2 v[1:2], v[1:2]
	s_waitcnt vmcnt(0) lgkmcnt(0)
	v_cmp_neq_f32_e32 vcc, 0, v1
	v_cmp_neq_f32_e64 s[0:1], 0, v2
	s_or_b64 s[0:1], vcc, s[0:1]
	s_and_saveexec_b64 s[10:11], s[0:1]
	s_cbranch_execz .LBB77_6
; %bb.1:
	s_load_dword s0, s[4:5], 0x54
	v_mov_b32_e32 v4, 0
	s_waitcnt lgkmcnt(0)
	s_and_b32 s0, s0, 0xffff
	s_mul_i32 s6, s6, s0
	v_add_u32_e32 v3, s6, v0
	v_cmp_gt_i64_e32 vcc, s[8:9], v[3:4]
	s_and_b64 exec, exec, vcc
	s_cbranch_execz .LBB77_6
; %bb.2:
	s_load_dwordx8 s[8:15], s[4:5], 0x18
	v_lshlrev_b64 v[3:4], 2, v[3:4]
	s_load_dwordx2 s[0:1], s[4:5], 0x38
	s_waitcnt lgkmcnt(0)
	v_mov_b32_e32 v0, s9
	v_add_co_u32_e32 v5, vcc, s8, v3
	v_addc_co_u32_e32 v6, vcc, v0, v4, vcc
	global_load_dword v0, v[5:6], off
	v_mov_b32_e32 v6, s11
	v_add_co_u32_e32 v5, vcc, s10, v3
	v_addc_co_u32_e32 v6, vcc, v6, v4, vcc
	global_load_dword v5, v[5:6], off
	;; [unrolled: 4-line block ×3, first 2 shown]
	v_mov_b32_e32 v10, s15
	v_mov_b32_e32 v9, s1
	s_waitcnt vmcnt(2)
	v_subrev_u32_e32 v3, s2, v0
	v_ashrrev_i32_e32 v4, 31, v3
	v_lshlrev_b64 v[3:4], 3, v[3:4]
	v_mul_f32_e32 v0, 0x80000000, v2
	v_add_co_u32_e32 v3, vcc, s14, v3
	s_waitcnt vmcnt(1)
	v_subrev_u32_e32 v5, s2, v5
	v_ashrrev_i32_e32 v6, 31, v5
	v_lshlrev_b64 v[7:8], 3, v[5:6]
	v_addc_co_u32_e32 v4, vcc, v10, v4, vcc
	global_load_dwordx2 v[5:6], v[3:4], off
	v_add_co_u32_e32 v3, vcc, s0, v7
	v_addc_co_u32_e32 v4, vcc, v9, v8, vcc
	global_load_dword v8, v[3:4], off
	v_mul_f32_e32 v9, 0, v1
	s_waitcnt vmcnt(2)
	v_fmac_f32_e32 v9, v2, v11
	v_fmac_f32_e32 v0, v1, v11
	s_mov_b64 s[0:1], 0
	s_waitcnt vmcnt(1)
	v_mul_f32_e64 v1, v6, -v9
	v_fmac_f32_e32 v1, v0, v5
.LBB77_3:                               ; =>This Inner Loop Header: Depth=1
	s_waitcnt vmcnt(0)
	v_add_f32_e32 v7, v8, v1
	global_atomic_cmpswap v2, v[3:4], v[7:8], off glc
	s_waitcnt vmcnt(0)
	v_cmp_eq_u32_e32 vcc, v2, v8
	s_or_b64 s[0:1], vcc, s[0:1]
	v_mov_b32_e32 v8, v2
	s_andn2_b64 exec, exec, s[0:1]
	s_cbranch_execnz .LBB77_3
; %bb.4:
	s_or_b64 exec, exec, s[0:1]
	global_load_dword v1, v[3:4], off offset:4
	v_mul_f32_e32 v2, v0, v6
	v_fmac_f32_e32 v2, v9, v5
	s_mov_b64 s[0:1], 0
.LBB77_5:                               ; =>This Inner Loop Header: Depth=1
	s_waitcnt vmcnt(0)
	v_add_f32_e32 v0, v1, v2
	global_atomic_cmpswap v0, v[3:4], v[0:1], off offset:4 glc
	s_waitcnt vmcnt(0)
	v_cmp_eq_u32_e32 vcc, v0, v1
	s_or_b64 s[0:1], vcc, s[0:1]
	v_mov_b32_e32 v1, v0
	s_andn2_b64 exec, exec, s[0:1]
	s_cbranch_execnz .LBB77_5
.LBB77_6:
	s_endpgm
	.section	.rodata,"a",@progbits
	.p2align	6, 0x0
	.amdhsa_kernel _ZN9rocsparseL13coomvt_kernelILj1024Eif21rocsparse_complex_numIfES2_S2_EEv20rocsparse_operation_lNS_24const_host_device_scalarIT4_EEPKT0_S9_PKT1_PKT2_PT3_21rocsparse_index_base_b
		.amdhsa_group_segment_fixed_size 0
		.amdhsa_private_segment_fixed_size 0
		.amdhsa_kernarg_size 328
		.amdhsa_user_sgpr_count 6
		.amdhsa_user_sgpr_private_segment_buffer 1
		.amdhsa_user_sgpr_dispatch_ptr 0
		.amdhsa_user_sgpr_queue_ptr 0
		.amdhsa_user_sgpr_kernarg_segment_ptr 1
		.amdhsa_user_sgpr_dispatch_id 0
		.amdhsa_user_sgpr_flat_scratch_init 0
		.amdhsa_user_sgpr_private_segment_size 0
		.amdhsa_uses_dynamic_stack 0
		.amdhsa_system_sgpr_private_segment_wavefront_offset 0
		.amdhsa_system_sgpr_workgroup_id_x 1
		.amdhsa_system_sgpr_workgroup_id_y 0
		.amdhsa_system_sgpr_workgroup_id_z 0
		.amdhsa_system_sgpr_workgroup_info 0
		.amdhsa_system_vgpr_workitem_id 0
		.amdhsa_next_free_vgpr 12
		.amdhsa_next_free_sgpr 16
		.amdhsa_reserve_vcc 1
		.amdhsa_reserve_flat_scratch 0
		.amdhsa_float_round_mode_32 0
		.amdhsa_float_round_mode_16_64 0
		.amdhsa_float_denorm_mode_32 3
		.amdhsa_float_denorm_mode_16_64 3
		.amdhsa_dx10_clamp 1
		.amdhsa_ieee_mode 1
		.amdhsa_fp16_overflow 0
		.amdhsa_exception_fp_ieee_invalid_op 0
		.amdhsa_exception_fp_denorm_src 0
		.amdhsa_exception_fp_ieee_div_zero 0
		.amdhsa_exception_fp_ieee_overflow 0
		.amdhsa_exception_fp_ieee_underflow 0
		.amdhsa_exception_fp_ieee_inexact 0
		.amdhsa_exception_int_div_zero 0
	.end_amdhsa_kernel
	.section	.text._ZN9rocsparseL13coomvt_kernelILj1024Eif21rocsparse_complex_numIfES2_S2_EEv20rocsparse_operation_lNS_24const_host_device_scalarIT4_EEPKT0_S9_PKT1_PKT2_PT3_21rocsparse_index_base_b,"axG",@progbits,_ZN9rocsparseL13coomvt_kernelILj1024Eif21rocsparse_complex_numIfES2_S2_EEv20rocsparse_operation_lNS_24const_host_device_scalarIT4_EEPKT0_S9_PKT1_PKT2_PT3_21rocsparse_index_base_b,comdat
.Lfunc_end77:
	.size	_ZN9rocsparseL13coomvt_kernelILj1024Eif21rocsparse_complex_numIfES2_S2_EEv20rocsparse_operation_lNS_24const_host_device_scalarIT4_EEPKT0_S9_PKT1_PKT2_PT3_21rocsparse_index_base_b, .Lfunc_end77-_ZN9rocsparseL13coomvt_kernelILj1024Eif21rocsparse_complex_numIfES2_S2_EEv20rocsparse_operation_lNS_24const_host_device_scalarIT4_EEPKT0_S9_PKT1_PKT2_PT3_21rocsparse_index_base_b
                                        ; -- End function
	.set _ZN9rocsparseL13coomvt_kernelILj1024Eif21rocsparse_complex_numIfES2_S2_EEv20rocsparse_operation_lNS_24const_host_device_scalarIT4_EEPKT0_S9_PKT1_PKT2_PT3_21rocsparse_index_base_b.num_vgpr, 12
	.set _ZN9rocsparseL13coomvt_kernelILj1024Eif21rocsparse_complex_numIfES2_S2_EEv20rocsparse_operation_lNS_24const_host_device_scalarIT4_EEPKT0_S9_PKT1_PKT2_PT3_21rocsparse_index_base_b.num_agpr, 0
	.set _ZN9rocsparseL13coomvt_kernelILj1024Eif21rocsparse_complex_numIfES2_S2_EEv20rocsparse_operation_lNS_24const_host_device_scalarIT4_EEPKT0_S9_PKT1_PKT2_PT3_21rocsparse_index_base_b.numbered_sgpr, 16
	.set _ZN9rocsparseL13coomvt_kernelILj1024Eif21rocsparse_complex_numIfES2_S2_EEv20rocsparse_operation_lNS_24const_host_device_scalarIT4_EEPKT0_S9_PKT1_PKT2_PT3_21rocsparse_index_base_b.num_named_barrier, 0
	.set _ZN9rocsparseL13coomvt_kernelILj1024Eif21rocsparse_complex_numIfES2_S2_EEv20rocsparse_operation_lNS_24const_host_device_scalarIT4_EEPKT0_S9_PKT1_PKT2_PT3_21rocsparse_index_base_b.private_seg_size, 0
	.set _ZN9rocsparseL13coomvt_kernelILj1024Eif21rocsparse_complex_numIfES2_S2_EEv20rocsparse_operation_lNS_24const_host_device_scalarIT4_EEPKT0_S9_PKT1_PKT2_PT3_21rocsparse_index_base_b.uses_vcc, 1
	.set _ZN9rocsparseL13coomvt_kernelILj1024Eif21rocsparse_complex_numIfES2_S2_EEv20rocsparse_operation_lNS_24const_host_device_scalarIT4_EEPKT0_S9_PKT1_PKT2_PT3_21rocsparse_index_base_b.uses_flat_scratch, 0
	.set _ZN9rocsparseL13coomvt_kernelILj1024Eif21rocsparse_complex_numIfES2_S2_EEv20rocsparse_operation_lNS_24const_host_device_scalarIT4_EEPKT0_S9_PKT1_PKT2_PT3_21rocsparse_index_base_b.has_dyn_sized_stack, 0
	.set _ZN9rocsparseL13coomvt_kernelILj1024Eif21rocsparse_complex_numIfES2_S2_EEv20rocsparse_operation_lNS_24const_host_device_scalarIT4_EEPKT0_S9_PKT1_PKT2_PT3_21rocsparse_index_base_b.has_recursion, 0
	.set _ZN9rocsparseL13coomvt_kernelILj1024Eif21rocsparse_complex_numIfES2_S2_EEv20rocsparse_operation_lNS_24const_host_device_scalarIT4_EEPKT0_S9_PKT1_PKT2_PT3_21rocsparse_index_base_b.has_indirect_call, 0
	.section	.AMDGPU.csdata,"",@progbits
; Kernel info:
; codeLenInByte = 448
; TotalNumSgprs: 20
; NumVgprs: 12
; ScratchSize: 0
; MemoryBound: 0
; FloatMode: 240
; IeeeMode: 1
; LDSByteSize: 0 bytes/workgroup (compile time only)
; SGPRBlocks: 2
; VGPRBlocks: 2
; NumSGPRsForWavesPerEU: 20
; NumVGPRsForWavesPerEU: 12
; Occupancy: 10
; WaveLimiterHint : 1
; COMPUTE_PGM_RSRC2:SCRATCH_EN: 0
; COMPUTE_PGM_RSRC2:USER_SGPR: 6
; COMPUTE_PGM_RSRC2:TRAP_HANDLER: 0
; COMPUTE_PGM_RSRC2:TGID_X_EN: 1
; COMPUTE_PGM_RSRC2:TGID_Y_EN: 0
; COMPUTE_PGM_RSRC2:TGID_Z_EN: 0
; COMPUTE_PGM_RSRC2:TIDIG_COMP_CNT: 0
	.section	.text._ZN9rocsparseL19coomvn_atomic_loopsILj256ELj1Eif21rocsparse_complex_numIfES2_S2_EEvlNS_24const_host_device_scalarIT5_EEPKT1_S8_PKT2_PKT3_PT4_21rocsparse_index_base_b,"axG",@progbits,_ZN9rocsparseL19coomvn_atomic_loopsILj256ELj1Eif21rocsparse_complex_numIfES2_S2_EEvlNS_24const_host_device_scalarIT5_EEPKT1_S8_PKT2_PKT3_PT4_21rocsparse_index_base_b,comdat
	.globl	_ZN9rocsparseL19coomvn_atomic_loopsILj256ELj1Eif21rocsparse_complex_numIfES2_S2_EEvlNS_24const_host_device_scalarIT5_EEPKT1_S8_PKT2_PKT3_PT4_21rocsparse_index_base_b ; -- Begin function _ZN9rocsparseL19coomvn_atomic_loopsILj256ELj1Eif21rocsparse_complex_numIfES2_S2_EEvlNS_24const_host_device_scalarIT5_EEPKT1_S8_PKT2_PKT3_PT4_21rocsparse_index_base_b
	.p2align	8
	.type	_ZN9rocsparseL19coomvn_atomic_loopsILj256ELj1Eif21rocsparse_complex_numIfES2_S2_EEvlNS_24const_host_device_scalarIT5_EEPKT1_S8_PKT2_PKT3_PT4_21rocsparse_index_base_b,@function
_ZN9rocsparseL19coomvn_atomic_loopsILj256ELj1Eif21rocsparse_complex_numIfES2_S2_EEvlNS_24const_host_device_scalarIT5_EEPKT1_S8_PKT2_PKT3_PT4_21rocsparse_index_base_b: ; @_ZN9rocsparseL19coomvn_atomic_loopsILj256ELj1Eif21rocsparse_complex_numIfES2_S2_EEvlNS_24const_host_device_scalarIT5_EEPKT1_S8_PKT2_PKT3_PT4_21rocsparse_index_base_b
; %bb.0:
	s_load_dwordx2 s[2:3], s[4:5], 0x38
	s_load_dwordx4 s[8:11], s[4:5], 0x0
	s_or_b32 s0, s4, 8
	s_waitcnt lgkmcnt(0)
	s_bitcmp1_b32 s3, 0
	s_cselect_b32 s1, s5, s11
	s_cselect_b32 s0, s0, s10
	v_mov_b32_e32 v1, s0
	v_mov_b32_e32 v2, s1
	flat_load_dwordx2 v[1:2], v[1:2]
	s_waitcnt vmcnt(0) lgkmcnt(0)
	v_cmp_neq_f32_e32 vcc, 0, v1
	v_cmp_neq_f32_e64 s[0:1], 0, v2
	s_or_b64 s[0:1], vcc, s[0:1]
	s_and_saveexec_b64 s[10:11], s[0:1]
	s_cbranch_execz .LBB78_46
; %bb.1:
	v_lshl_or_b32 v6, s6, 8, v0
	v_mov_b32_e32 v7, 0
	v_cmp_gt_i64_e32 vcc, s[8:9], v[6:7]
	v_mov_b32_e32 v5, -1
	v_mov_b32_e32 v3, v7
	v_mov_b32_e32 v4, v7
	s_and_saveexec_b64 s[0:1], vcc
	s_cbranch_execz .LBB78_3
; %bb.2:
	s_load_dwordx8 s[8:15], s[4:5], 0x10
	v_lshlrev_b64 v[3:4], 2, v[6:7]
	s_waitcnt lgkmcnt(0)
	v_mov_b32_e32 v6, s11
	v_add_co_u32_e32 v5, vcc, s10, v3
	v_addc_co_u32_e32 v6, vcc, v6, v4, vcc
	global_load_dword v7, v[5:6], off glc slc
	v_mov_b32_e32 v6, s9
	v_add_co_u32_e32 v5, vcc, s8, v3
	v_addc_co_u32_e32 v6, vcc, v6, v4, vcc
	global_load_dword v10, v[5:6], off glc slc
	v_mov_b32_e32 v8, s13
	v_add_co_u32_e32 v3, vcc, s12, v3
	v_addc_co_u32_e32 v4, vcc, v8, v4, vcc
	v_mov_b32_e32 v9, s15
	s_waitcnt vmcnt(1)
	v_subrev_u32_e32 v5, s2, v7
	v_ashrrev_i32_e32 v6, 31, v5
	v_lshlrev_b64 v[5:6], 3, v[5:6]
	v_add_co_u32_e32 v5, vcc, s14, v5
	v_addc_co_u32_e32 v6, vcc, v9, v6, vcc
	global_load_dwordx2 v[7:8], v[5:6], off
	global_load_dword v9, v[3:4], off glc slc
	s_waitcnt vmcnt(2)
	v_subrev_u32_e32 v5, s2, v10
	s_waitcnt vmcnt(1)
	v_mul_f32_e32 v3, 0x80000000, v8
	s_waitcnt vmcnt(0)
	v_mul_f32_e32 v4, v9, v8
	v_fmac_f32_e32 v3, v9, v7
	v_fmac_f32_e32 v4, 0, v7
.LBB78_3:
	s_or_b64 exec, exec, s[0:1]
	v_lshlrev_b32_e32 v7, 2, v0
	v_or_b32_e32 v6, 0x800, v7
	ds_write_b32 v7, v5 offset:2048
	v_lshlrev_b32_e32 v7, 3, v0
	v_cmp_ne_u32_e32 vcc, 0, v0
	ds_write_b64 v7, v[3:4]
	s_waitcnt lgkmcnt(0)
	s_barrier
	s_and_saveexec_b64 s[0:1], vcc
	s_cbranch_execz .LBB78_7
; %bb.4:
	v_add_u32_e32 v8, -4, v6
	ds_read_b32 v8, v8
	s_waitcnt lgkmcnt(0)
	v_cmp_eq_u32_e32 vcc, v5, v8
	s_and_saveexec_b64 s[2:3], vcc
	s_cbranch_execz .LBB78_6
; %bb.5:
	v_add_u32_e32 v8, -8, v7
	ds_read_b64 v[8:9], v8
	s_waitcnt lgkmcnt(0)
	v_add_f32_e32 v3, v3, v8
	v_add_f32_e32 v4, v4, v9
.LBB78_6:
	s_or_b64 exec, exec, s[2:3]
.LBB78_7:
	s_or_b64 exec, exec, s[0:1]
	v_cmp_lt_u32_e32 vcc, 1, v0
	s_barrier
	ds_write_b64 v7, v[3:4]
	s_waitcnt lgkmcnt(0)
	s_barrier
	s_and_saveexec_b64 s[0:1], vcc
	s_cbranch_execz .LBB78_11
; %bb.8:
	v_add_u32_e32 v8, -8, v6
	ds_read_b32 v8, v8
	s_waitcnt lgkmcnt(0)
	v_cmp_eq_u32_e32 vcc, v5, v8
	s_and_saveexec_b64 s[2:3], vcc
	s_cbranch_execz .LBB78_10
; %bb.9:
	v_add_u32_e32 v8, -16, v7
	ds_read_b64 v[8:9], v8
	s_waitcnt lgkmcnt(0)
	v_add_f32_e32 v3, v3, v8
	v_add_f32_e32 v4, v4, v9
.LBB78_10:
	s_or_b64 exec, exec, s[2:3]
.LBB78_11:
	s_or_b64 exec, exec, s[0:1]
	v_cmp_lt_u32_e32 vcc, 3, v0
	s_barrier
	ds_write_b64 v7, v[3:4]
	s_waitcnt lgkmcnt(0)
	s_barrier
	s_and_saveexec_b64 s[0:1], vcc
	s_cbranch_execz .LBB78_15
; %bb.12:
	v_add_u32_e32 v8, -16, v6
	ds_read_b32 v8, v8
	s_waitcnt lgkmcnt(0)
	v_cmp_eq_u32_e32 vcc, v5, v8
	s_and_saveexec_b64 s[2:3], vcc
	s_cbranch_execz .LBB78_14
; %bb.13:
	v_subrev_u32_e32 v8, 32, v7
	ds_read_b64 v[8:9], v8
	s_waitcnt lgkmcnt(0)
	v_add_f32_e32 v3, v3, v8
	v_add_f32_e32 v4, v4, v9
.LBB78_14:
	s_or_b64 exec, exec, s[2:3]
.LBB78_15:
	s_or_b64 exec, exec, s[0:1]
	v_cmp_lt_u32_e32 vcc, 7, v0
	s_barrier
	ds_write_b64 v7, v[3:4]
	s_waitcnt lgkmcnt(0)
	s_barrier
	s_and_saveexec_b64 s[0:1], vcc
	s_cbranch_execz .LBB78_19
; %bb.16:
	v_subrev_u32_e32 v8, 32, v6
	ds_read_b32 v8, v8
	s_waitcnt lgkmcnt(0)
	v_cmp_eq_u32_e32 vcc, v5, v8
	s_and_saveexec_b64 s[2:3], vcc
	s_cbranch_execz .LBB78_18
; %bb.17:
	v_subrev_u32_e32 v8, 64, v7
	ds_read_b64 v[8:9], v8
	s_waitcnt lgkmcnt(0)
	v_add_f32_e32 v3, v3, v8
	v_add_f32_e32 v4, v4, v9
.LBB78_18:
	s_or_b64 exec, exec, s[2:3]
.LBB78_19:
	s_or_b64 exec, exec, s[0:1]
	v_cmp_lt_u32_e32 vcc, 15, v0
	s_barrier
	ds_write_b64 v7, v[3:4]
	s_waitcnt lgkmcnt(0)
	s_barrier
	s_and_saveexec_b64 s[0:1], vcc
	s_cbranch_execz .LBB78_23
; %bb.20:
	v_subrev_u32_e32 v8, 64, v6
	ds_read_b32 v8, v8
	s_waitcnt lgkmcnt(0)
	v_cmp_eq_u32_e32 vcc, v5, v8
	s_and_saveexec_b64 s[2:3], vcc
	s_cbranch_execz .LBB78_22
; %bb.21:
	v_add_u32_e32 v8, 0xffffff80, v7
	ds_read_b64 v[8:9], v8
	s_waitcnt lgkmcnt(0)
	v_add_f32_e32 v3, v3, v8
	v_add_f32_e32 v4, v4, v9
.LBB78_22:
	s_or_b64 exec, exec, s[2:3]
.LBB78_23:
	s_or_b64 exec, exec, s[0:1]
	v_cmp_lt_u32_e32 vcc, 31, v0
	s_barrier
	ds_write_b64 v7, v[3:4]
	s_waitcnt lgkmcnt(0)
	s_barrier
	s_and_saveexec_b64 s[0:1], vcc
	s_cbranch_execz .LBB78_27
; %bb.24:
	v_add_u32_e32 v8, 0xffffff80, v6
	ds_read_b32 v8, v8
	s_waitcnt lgkmcnt(0)
	v_cmp_eq_u32_e32 vcc, v5, v8
	s_and_saveexec_b64 s[2:3], vcc
	s_cbranch_execz .LBB78_26
; %bb.25:
	v_add_u32_e32 v8, 0xffffff00, v7
	ds_read_b64 v[8:9], v8
	s_waitcnt lgkmcnt(0)
	v_add_f32_e32 v3, v3, v8
	v_add_f32_e32 v4, v4, v9
.LBB78_26:
	s_or_b64 exec, exec, s[2:3]
.LBB78_27:
	s_or_b64 exec, exec, s[0:1]
	v_cmp_lt_u32_e32 vcc, 63, v0
	s_barrier
	ds_write_b64 v7, v[3:4]
	s_waitcnt lgkmcnt(0)
	s_barrier
	s_and_saveexec_b64 s[0:1], vcc
	s_cbranch_execz .LBB78_31
; %bb.28:
	v_add_u32_e32 v8, 0xffffff00, v6
	ds_read_b32 v8, v8
	s_waitcnt lgkmcnt(0)
	v_cmp_eq_u32_e32 vcc, v5, v8
	s_and_saveexec_b64 s[2:3], vcc
	s_cbranch_execz .LBB78_30
; %bb.29:
	v_add_u32_e32 v8, 0xfffffe00, v7
	ds_read_b64 v[8:9], v8
	s_waitcnt lgkmcnt(0)
	v_add_f32_e32 v3, v3, v8
	v_add_f32_e32 v4, v4, v9
.LBB78_30:
	s_or_b64 exec, exec, s[2:3]
.LBB78_31:
	s_or_b64 exec, exec, s[0:1]
	s_load_dwordx2 s[2:3], s[4:5], 0x30
	s_movk_i32 s0, 0x7f
	v_cmp_lt_u32_e32 vcc, s0, v0
	s_waitcnt lgkmcnt(0)
	s_barrier
	ds_write_b64 v7, v[3:4]
	s_waitcnt lgkmcnt(0)
	s_barrier
	s_and_saveexec_b64 s[0:1], vcc
	s_cbranch_execz .LBB78_35
; %bb.32:
	v_add_u32_e32 v8, 0xfffffe00, v6
	ds_read_b32 v8, v8
	s_waitcnt lgkmcnt(0)
	v_cmp_eq_u32_e32 vcc, v5, v8
	s_and_saveexec_b64 s[4:5], vcc
	s_cbranch_execz .LBB78_34
; %bb.33:
	v_add_u32_e32 v8, 0xfffffc00, v7
	ds_read_b64 v[8:9], v8
	s_waitcnt lgkmcnt(0)
	v_add_f32_e32 v3, v3, v8
	v_add_f32_e32 v4, v4, v9
.LBB78_34:
	s_or_b64 exec, exec, s[4:5]
.LBB78_35:
	s_or_b64 exec, exec, s[0:1]
	s_movk_i32 s6, 0xff
	v_cmp_gt_u32_e32 vcc, s6, v0
	s_barrier
	ds_write_b64 v7, v[3:4]
	s_waitcnt lgkmcnt(0)
	s_barrier
	s_and_saveexec_b64 s[4:5], vcc
	s_cbranch_execz .LBB78_41
; %bb.36:
	ds_read_b32 v6, v6 offset:4
	v_cmp_lt_i32_e64 s[0:1], -1, v5
	s_waitcnt lgkmcnt(0)
	v_cmp_ne_u32_e32 vcc, v5, v6
	s_and_b64 s[0:1], s[0:1], vcc
	s_and_b64 exec, exec, s[0:1]
	s_cbranch_execz .LBB78_41
; %bb.37:
	v_mov_b32_e32 v6, 0
	v_lshlrev_b64 v[6:7], 3, v[5:6]
	v_mov_b32_e32 v8, s3
	v_add_co_u32_e32 v6, vcc, s2, v6
	v_addc_co_u32_e32 v7, vcc, v8, v7, vcc
	global_load_dword v9, v[6:7], off
	v_mul_f32_e64 v10, v4, -v2
	v_fmac_f32_e32 v10, v1, v3
	s_mov_b64 s[0:1], 0
.LBB78_38:                              ; =>This Inner Loop Header: Depth=1
	s_waitcnt vmcnt(0)
	v_add_f32_e32 v8, v9, v10
	global_atomic_cmpswap v8, v[6:7], v[8:9], off glc
	s_waitcnt vmcnt(0)
	v_cmp_eq_u32_e32 vcc, v8, v9
	s_or_b64 s[0:1], vcc, s[0:1]
	v_mov_b32_e32 v9, v8
	s_andn2_b64 exec, exec, s[0:1]
	s_cbranch_execnz .LBB78_38
; %bb.39:
	s_or_b64 exec, exec, s[0:1]
	global_load_dword v9, v[6:7], off offset:4
	v_mul_f32_e32 v10, v1, v4
	v_fmac_f32_e32 v10, v2, v3
	s_mov_b64 s[0:1], 0
.LBB78_40:                              ; =>This Inner Loop Header: Depth=1
	s_waitcnt vmcnt(0)
	v_add_f32_e32 v8, v9, v10
	global_atomic_cmpswap v8, v[6:7], v[8:9], off offset:4 glc
	s_waitcnt vmcnt(0)
	v_cmp_eq_u32_e32 vcc, v8, v9
	s_or_b64 s[0:1], vcc, s[0:1]
	v_mov_b32_e32 v9, v8
	s_andn2_b64 exec, exec, s[0:1]
	s_cbranch_execnz .LBB78_40
.LBB78_41:
	s_or_b64 exec, exec, s[4:5]
	v_cmp_eq_u32_e32 vcc, s6, v0
	v_cmp_lt_i32_e64 s[0:1], -1, v5
	s_and_b64 s[0:1], vcc, s[0:1]
	s_and_b64 exec, exec, s[0:1]
	s_cbranch_execz .LBB78_46
; %bb.42:
	v_mov_b32_e32 v6, 0
	v_lshlrev_b64 v[5:6], 3, v[5:6]
	v_mov_b32_e32 v0, s3
	v_add_co_u32_e32 v5, vcc, s2, v5
	v_addc_co_u32_e32 v6, vcc, v0, v6, vcc
	global_load_dword v8, v[5:6], off
	v_mul_f32_e64 v0, v4, -v2
	v_fmac_f32_e32 v0, v1, v3
	s_mov_b64 s[0:1], 0
.LBB78_43:                              ; =>This Inner Loop Header: Depth=1
	s_waitcnt vmcnt(0)
	v_add_f32_e32 v7, v8, v0
	global_atomic_cmpswap v7, v[5:6], v[7:8], off glc
	s_waitcnt vmcnt(0)
	v_cmp_eq_u32_e32 vcc, v7, v8
	s_or_b64 s[0:1], vcc, s[0:1]
	v_mov_b32_e32 v8, v7
	s_andn2_b64 exec, exec, s[0:1]
	s_cbranch_execnz .LBB78_43
; %bb.44:
	s_or_b64 exec, exec, s[0:1]
	global_load_dword v8, v[5:6], off offset:4
	v_mul_f32_e32 v0, v1, v4
	v_fmac_f32_e32 v0, v2, v3
	s_mov_b64 s[0:1], 0
.LBB78_45:                              ; =>This Inner Loop Header: Depth=1
	s_waitcnt vmcnt(0)
	v_add_f32_e32 v7, v8, v0
	global_atomic_cmpswap v1, v[5:6], v[7:8], off offset:4 glc
	s_waitcnt vmcnt(0)
	v_cmp_eq_u32_e32 vcc, v1, v8
	s_or_b64 s[0:1], vcc, s[0:1]
	v_mov_b32_e32 v8, v1
	s_andn2_b64 exec, exec, s[0:1]
	s_cbranch_execnz .LBB78_45
.LBB78_46:
	s_endpgm
	.section	.rodata,"a",@progbits
	.p2align	6, 0x0
	.amdhsa_kernel _ZN9rocsparseL19coomvn_atomic_loopsILj256ELj1Eif21rocsparse_complex_numIfES2_S2_EEvlNS_24const_host_device_scalarIT5_EEPKT1_S8_PKT2_PKT3_PT4_21rocsparse_index_base_b
		.amdhsa_group_segment_fixed_size 3072
		.amdhsa_private_segment_fixed_size 0
		.amdhsa_kernarg_size 64
		.amdhsa_user_sgpr_count 6
		.amdhsa_user_sgpr_private_segment_buffer 1
		.amdhsa_user_sgpr_dispatch_ptr 0
		.amdhsa_user_sgpr_queue_ptr 0
		.amdhsa_user_sgpr_kernarg_segment_ptr 1
		.amdhsa_user_sgpr_dispatch_id 0
		.amdhsa_user_sgpr_flat_scratch_init 0
		.amdhsa_user_sgpr_private_segment_size 0
		.amdhsa_uses_dynamic_stack 0
		.amdhsa_system_sgpr_private_segment_wavefront_offset 0
		.amdhsa_system_sgpr_workgroup_id_x 1
		.amdhsa_system_sgpr_workgroup_id_y 0
		.amdhsa_system_sgpr_workgroup_id_z 0
		.amdhsa_system_sgpr_workgroup_info 0
		.amdhsa_system_vgpr_workitem_id 0
		.amdhsa_next_free_vgpr 11
		.amdhsa_next_free_sgpr 16
		.amdhsa_reserve_vcc 1
		.amdhsa_reserve_flat_scratch 0
		.amdhsa_float_round_mode_32 0
		.amdhsa_float_round_mode_16_64 0
		.amdhsa_float_denorm_mode_32 3
		.amdhsa_float_denorm_mode_16_64 3
		.amdhsa_dx10_clamp 1
		.amdhsa_ieee_mode 1
		.amdhsa_fp16_overflow 0
		.amdhsa_exception_fp_ieee_invalid_op 0
		.amdhsa_exception_fp_denorm_src 0
		.amdhsa_exception_fp_ieee_div_zero 0
		.amdhsa_exception_fp_ieee_overflow 0
		.amdhsa_exception_fp_ieee_underflow 0
		.amdhsa_exception_fp_ieee_inexact 0
		.amdhsa_exception_int_div_zero 0
	.end_amdhsa_kernel
	.section	.text._ZN9rocsparseL19coomvn_atomic_loopsILj256ELj1Eif21rocsparse_complex_numIfES2_S2_EEvlNS_24const_host_device_scalarIT5_EEPKT1_S8_PKT2_PKT3_PT4_21rocsparse_index_base_b,"axG",@progbits,_ZN9rocsparseL19coomvn_atomic_loopsILj256ELj1Eif21rocsparse_complex_numIfES2_S2_EEvlNS_24const_host_device_scalarIT5_EEPKT1_S8_PKT2_PKT3_PT4_21rocsparse_index_base_b,comdat
.Lfunc_end78:
	.size	_ZN9rocsparseL19coomvn_atomic_loopsILj256ELj1Eif21rocsparse_complex_numIfES2_S2_EEvlNS_24const_host_device_scalarIT5_EEPKT1_S8_PKT2_PKT3_PT4_21rocsparse_index_base_b, .Lfunc_end78-_ZN9rocsparseL19coomvn_atomic_loopsILj256ELj1Eif21rocsparse_complex_numIfES2_S2_EEvlNS_24const_host_device_scalarIT5_EEPKT1_S8_PKT2_PKT3_PT4_21rocsparse_index_base_b
                                        ; -- End function
	.set _ZN9rocsparseL19coomvn_atomic_loopsILj256ELj1Eif21rocsparse_complex_numIfES2_S2_EEvlNS_24const_host_device_scalarIT5_EEPKT1_S8_PKT2_PKT3_PT4_21rocsparse_index_base_b.num_vgpr, 11
	.set _ZN9rocsparseL19coomvn_atomic_loopsILj256ELj1Eif21rocsparse_complex_numIfES2_S2_EEvlNS_24const_host_device_scalarIT5_EEPKT1_S8_PKT2_PKT3_PT4_21rocsparse_index_base_b.num_agpr, 0
	.set _ZN9rocsparseL19coomvn_atomic_loopsILj256ELj1Eif21rocsparse_complex_numIfES2_S2_EEvlNS_24const_host_device_scalarIT5_EEPKT1_S8_PKT2_PKT3_PT4_21rocsparse_index_base_b.numbered_sgpr, 16
	.set _ZN9rocsparseL19coomvn_atomic_loopsILj256ELj1Eif21rocsparse_complex_numIfES2_S2_EEvlNS_24const_host_device_scalarIT5_EEPKT1_S8_PKT2_PKT3_PT4_21rocsparse_index_base_b.num_named_barrier, 0
	.set _ZN9rocsparseL19coomvn_atomic_loopsILj256ELj1Eif21rocsparse_complex_numIfES2_S2_EEvlNS_24const_host_device_scalarIT5_EEPKT1_S8_PKT2_PKT3_PT4_21rocsparse_index_base_b.private_seg_size, 0
	.set _ZN9rocsparseL19coomvn_atomic_loopsILj256ELj1Eif21rocsparse_complex_numIfES2_S2_EEvlNS_24const_host_device_scalarIT5_EEPKT1_S8_PKT2_PKT3_PT4_21rocsparse_index_base_b.uses_vcc, 1
	.set _ZN9rocsparseL19coomvn_atomic_loopsILj256ELj1Eif21rocsparse_complex_numIfES2_S2_EEvlNS_24const_host_device_scalarIT5_EEPKT1_S8_PKT2_PKT3_PT4_21rocsparse_index_base_b.uses_flat_scratch, 0
	.set _ZN9rocsparseL19coomvn_atomic_loopsILj256ELj1Eif21rocsparse_complex_numIfES2_S2_EEvlNS_24const_host_device_scalarIT5_EEPKT1_S8_PKT2_PKT3_PT4_21rocsparse_index_base_b.has_dyn_sized_stack, 0
	.set _ZN9rocsparseL19coomvn_atomic_loopsILj256ELj1Eif21rocsparse_complex_numIfES2_S2_EEvlNS_24const_host_device_scalarIT5_EEPKT1_S8_PKT2_PKT3_PT4_21rocsparse_index_base_b.has_recursion, 0
	.set _ZN9rocsparseL19coomvn_atomic_loopsILj256ELj1Eif21rocsparse_complex_numIfES2_S2_EEvlNS_24const_host_device_scalarIT5_EEPKT1_S8_PKT2_PKT3_PT4_21rocsparse_index_base_b.has_indirect_call, 0
	.section	.AMDGPU.csdata,"",@progbits
; Kernel info:
; codeLenInByte = 1484
; TotalNumSgprs: 20
; NumVgprs: 11
; ScratchSize: 0
; MemoryBound: 0
; FloatMode: 240
; IeeeMode: 1
; LDSByteSize: 3072 bytes/workgroup (compile time only)
; SGPRBlocks: 2
; VGPRBlocks: 2
; NumSGPRsForWavesPerEU: 20
; NumVGPRsForWavesPerEU: 11
; Occupancy: 10
; WaveLimiterHint : 1
; COMPUTE_PGM_RSRC2:SCRATCH_EN: 0
; COMPUTE_PGM_RSRC2:USER_SGPR: 6
; COMPUTE_PGM_RSRC2:TRAP_HANDLER: 0
; COMPUTE_PGM_RSRC2:TGID_X_EN: 1
; COMPUTE_PGM_RSRC2:TGID_Y_EN: 0
; COMPUTE_PGM_RSRC2:TGID_Z_EN: 0
; COMPUTE_PGM_RSRC2:TIDIG_COMP_CNT: 0
	.section	.text._ZN9rocsparseL19coomvn_atomic_loopsILj256ELj2Eif21rocsparse_complex_numIfES2_S2_EEvlNS_24const_host_device_scalarIT5_EEPKT1_S8_PKT2_PKT3_PT4_21rocsparse_index_base_b,"axG",@progbits,_ZN9rocsparseL19coomvn_atomic_loopsILj256ELj2Eif21rocsparse_complex_numIfES2_S2_EEvlNS_24const_host_device_scalarIT5_EEPKT1_S8_PKT2_PKT3_PT4_21rocsparse_index_base_b,comdat
	.globl	_ZN9rocsparseL19coomvn_atomic_loopsILj256ELj2Eif21rocsparse_complex_numIfES2_S2_EEvlNS_24const_host_device_scalarIT5_EEPKT1_S8_PKT2_PKT3_PT4_21rocsparse_index_base_b ; -- Begin function _ZN9rocsparseL19coomvn_atomic_loopsILj256ELj2Eif21rocsparse_complex_numIfES2_S2_EEvlNS_24const_host_device_scalarIT5_EEPKT1_S8_PKT2_PKT3_PT4_21rocsparse_index_base_b
	.p2align	8
	.type	_ZN9rocsparseL19coomvn_atomic_loopsILj256ELj2Eif21rocsparse_complex_numIfES2_S2_EEvlNS_24const_host_device_scalarIT5_EEPKT1_S8_PKT2_PKT3_PT4_21rocsparse_index_base_b,@function
_ZN9rocsparseL19coomvn_atomic_loopsILj256ELj2Eif21rocsparse_complex_numIfES2_S2_EEvlNS_24const_host_device_scalarIT5_EEPKT1_S8_PKT2_PKT3_PT4_21rocsparse_index_base_b: ; @_ZN9rocsparseL19coomvn_atomic_loopsILj256ELj2Eif21rocsparse_complex_numIfES2_S2_EEvlNS_24const_host_device_scalarIT5_EEPKT1_S8_PKT2_PKT3_PT4_21rocsparse_index_base_b
; %bb.0:
	s_load_dwordx2 s[34:35], s[4:5], 0x38
	s_load_dwordx4 s[36:39], s[4:5], 0x0
	s_or_b32 s0, s4, 8
	s_waitcnt lgkmcnt(0)
	s_bitcmp1_b32 s35, 0
	s_cselect_b32 s1, s5, s39
	s_cselect_b32 s0, s0, s38
	v_mov_b32_e32 v1, s0
	v_mov_b32_e32 v2, s1
	flat_load_dwordx2 v[1:2], v[1:2]
	s_waitcnt vmcnt(0) lgkmcnt(0)
	v_cmp_neq_f32_e32 vcc, 0, v1
	v_cmp_neq_f32_e64 s[0:1], 0, v2
	s_or_b64 s[0:1], vcc, s[0:1]
	s_and_saveexec_b64 s[2:3], s[0:1]
	s_cbranch_execz .LBB79_105
; %bb.1:
	s_load_dwordx8 s[24:31], s[4:5], 0x10
	v_lshl_or_b32 v3, s6, 9, v0
	v_mov_b32_e32 v4, 0
	v_cmp_gt_i64_e32 vcc, s[36:37], v[3:4]
	v_lshlrev_b64 v[6:7], 2, v[3:4]
	v_mov_b32_e32 v10, -1
	v_mov_b32_e32 v8, v4
	v_mov_b32_e32 v9, v4
	s_and_saveexec_b64 s[0:1], vcc
	s_cbranch_execz .LBB79_3
; %bb.2:
	s_waitcnt lgkmcnt(0)
	v_mov_b32_e32 v5, s27
	v_add_co_u32_e32 v4, vcc, s26, v6
	v_addc_co_u32_e32 v5, vcc, v5, v7, vcc
	global_load_dword v10, v[4:5], off glc slc
	v_mov_b32_e32 v5, s25
	v_add_co_u32_e32 v4, vcc, s24, v6
	v_addc_co_u32_e32 v5, vcc, v5, v7, vcc
	global_load_dword v13, v[4:5], off glc slc
	v_mov_b32_e32 v9, s29
	v_add_co_u32_e32 v8, vcc, s28, v6
	v_addc_co_u32_e32 v9, vcc, v9, v7, vcc
	v_mov_b32_e32 v11, s31
	s_waitcnt vmcnt(1)
	v_subrev_u32_e32 v4, s34, v10
	v_ashrrev_i32_e32 v5, 31, v4
	v_lshlrev_b64 v[4:5], 3, v[4:5]
	v_add_co_u32_e32 v4, vcc, s30, v4
	v_addc_co_u32_e32 v5, vcc, v11, v5, vcc
	global_load_dwordx2 v[11:12], v[4:5], off
	global_load_dword v14, v[8:9], off glc slc
	s_waitcnt vmcnt(2)
	v_subrev_u32_e32 v10, s34, v13
	s_waitcnt vmcnt(1)
	v_mul_f32_e32 v8, 0x80000000, v12
	s_waitcnt vmcnt(0)
	v_mul_f32_e32 v9, v14, v12
	v_fmac_f32_e32 v8, v14, v11
	v_fmac_f32_e32 v9, 0, v11
.LBB79_3:
	s_or_b64 exec, exec, s[0:1]
	v_lshlrev_b32_e32 v4, 2, v0
	v_or_b32_e32 v12, 0x800, v4
	v_lshlrev_b32_e32 v13, 3, v0
	v_cmp_eq_u32_e64 s[18:19], 0, v0
	v_cmp_ne_u32_e64 s[0:1], 0, v0
	v_add_u32_e32 v14, -4, v12
	ds_write_b32 v4, v10 offset:2048
	ds_write_b64 v13, v[8:9]
	s_waitcnt lgkmcnt(0)
	s_barrier
	s_and_saveexec_b64 s[2:3], s[0:1]
	s_cbranch_execz .LBB79_7
; %bb.4:
	ds_read_b32 v4, v14
	s_waitcnt lgkmcnt(0)
	v_cmp_eq_u32_e32 vcc, v10, v4
	s_and_saveexec_b64 s[6:7], vcc
	s_cbranch_execz .LBB79_6
; %bb.5:
	v_add_u32_e32 v4, -8, v13
	ds_read_b64 v[4:5], v4
	s_waitcnt lgkmcnt(0)
	v_add_f32_e32 v8, v8, v4
	v_add_f32_e32 v9, v9, v5
.LBB79_6:
	s_or_b64 exec, exec, s[6:7]
.LBB79_7:
	s_or_b64 exec, exec, s[2:3]
	v_cmp_lt_u32_e64 s[2:3], 1, v0
	v_add_u32_e32 v15, -8, v12
	s_barrier
	ds_write_b64 v13, v[8:9]
	s_waitcnt lgkmcnt(0)
	s_barrier
	s_and_saveexec_b64 s[6:7], s[2:3]
	s_cbranch_execz .LBB79_11
; %bb.8:
	ds_read_b32 v4, v15
	s_waitcnt lgkmcnt(0)
	v_cmp_eq_u32_e32 vcc, v10, v4
	s_and_saveexec_b64 s[8:9], vcc
	s_cbranch_execz .LBB79_10
; %bb.9:
	v_add_u32_e32 v4, -16, v13
	ds_read_b64 v[4:5], v4
	s_waitcnt lgkmcnt(0)
	v_add_f32_e32 v8, v8, v4
	v_add_f32_e32 v9, v9, v5
.LBB79_10:
	s_or_b64 exec, exec, s[8:9]
.LBB79_11:
	s_or_b64 exec, exec, s[6:7]
	v_cmp_lt_u32_e64 s[20:21], 3, v0
	v_add_u32_e32 v16, -16, v12
	s_barrier
	ds_write_b64 v13, v[8:9]
	s_waitcnt lgkmcnt(0)
	s_barrier
	s_and_saveexec_b64 s[6:7], s[20:21]
	s_cbranch_execz .LBB79_15
; %bb.12:
	ds_read_b32 v4, v16
	s_waitcnt lgkmcnt(0)
	v_cmp_eq_u32_e32 vcc, v10, v4
	s_and_saveexec_b64 s[8:9], vcc
	s_cbranch_execz .LBB79_14
; %bb.13:
	v_subrev_u32_e32 v4, 32, v13
	ds_read_b64 v[4:5], v4
	s_waitcnt lgkmcnt(0)
	v_add_f32_e32 v8, v8, v4
	v_add_f32_e32 v9, v9, v5
.LBB79_14:
	s_or_b64 exec, exec, s[8:9]
.LBB79_15:
	s_or_b64 exec, exec, s[6:7]
	v_cmp_lt_u32_e64 s[6:7], 7, v0
	v_subrev_u32_e32 v17, 32, v12
	s_barrier
	ds_write_b64 v13, v[8:9]
	s_waitcnt lgkmcnt(0)
	s_barrier
	s_and_saveexec_b64 s[8:9], s[6:7]
	s_cbranch_execz .LBB79_19
; %bb.16:
	ds_read_b32 v4, v17
	s_waitcnt lgkmcnt(0)
	v_cmp_eq_u32_e32 vcc, v10, v4
	s_and_saveexec_b64 s[10:11], vcc
	s_cbranch_execz .LBB79_18
; %bb.17:
	v_subrev_u32_e32 v4, 64, v13
	ds_read_b64 v[4:5], v4
	s_waitcnt lgkmcnt(0)
	v_add_f32_e32 v8, v8, v4
	v_add_f32_e32 v9, v9, v5
.LBB79_18:
	s_or_b64 exec, exec, s[10:11]
.LBB79_19:
	s_or_b64 exec, exec, s[8:9]
	v_cmp_lt_u32_e64 s[8:9], 15, v0
	v_subrev_u32_e32 v18, 64, v12
	s_barrier
	ds_write_b64 v13, v[8:9]
	s_waitcnt lgkmcnt(0)
	s_barrier
	s_and_saveexec_b64 s[10:11], s[8:9]
	s_cbranch_execz .LBB79_23
; %bb.20:
	ds_read_b32 v4, v18
	s_waitcnt lgkmcnt(0)
	v_cmp_eq_u32_e32 vcc, v10, v4
	s_and_saveexec_b64 s[12:13], vcc
	s_cbranch_execz .LBB79_22
; %bb.21:
	v_add_u32_e32 v4, 0xffffff80, v13
	ds_read_b64 v[4:5], v4
	s_waitcnt lgkmcnt(0)
	v_add_f32_e32 v8, v8, v4
	v_add_f32_e32 v9, v9, v5
.LBB79_22:
	s_or_b64 exec, exec, s[12:13]
.LBB79_23:
	s_or_b64 exec, exec, s[10:11]
	v_cmp_lt_u32_e64 s[10:11], 31, v0
	s_barrier
	ds_write_b64 v13, v[8:9]
	s_waitcnt lgkmcnt(0)
	s_barrier
	s_and_saveexec_b64 s[12:13], s[10:11]
	s_cbranch_execz .LBB79_27
; %bb.24:
	v_add_u32_e32 v4, 0xffffff80, v12
	ds_read_b32 v4, v4
	s_waitcnt lgkmcnt(0)
	v_cmp_eq_u32_e32 vcc, v10, v4
	s_and_saveexec_b64 s[14:15], vcc
	s_cbranch_execz .LBB79_26
; %bb.25:
	v_add_u32_e32 v4, 0xffffff00, v13
	ds_read_b64 v[4:5], v4
	s_waitcnt lgkmcnt(0)
	v_add_f32_e32 v8, v8, v4
	v_add_f32_e32 v9, v9, v5
.LBB79_26:
	s_or_b64 exec, exec, s[14:15]
.LBB79_27:
	s_or_b64 exec, exec, s[12:13]
	v_cmp_lt_u32_e64 s[12:13], 63, v0
	s_barrier
	ds_write_b64 v13, v[8:9]
	s_waitcnt lgkmcnt(0)
	s_barrier
	s_and_saveexec_b64 s[14:15], s[12:13]
	s_cbranch_execz .LBB79_31
; %bb.28:
	v_add_u32_e32 v4, 0xffffff00, v12
	ds_read_b32 v4, v4
	s_waitcnt lgkmcnt(0)
	v_cmp_eq_u32_e32 vcc, v10, v4
	s_and_saveexec_b64 s[16:17], vcc
	s_cbranch_execz .LBB79_30
; %bb.29:
	v_add_u32_e32 v4, 0xfffffe00, v13
	ds_read_b64 v[4:5], v4
	s_waitcnt lgkmcnt(0)
	v_add_f32_e32 v8, v8, v4
	v_add_f32_e32 v9, v9, v5
.LBB79_30:
	s_or_b64 exec, exec, s[16:17]
.LBB79_31:
	s_or_b64 exec, exec, s[14:15]
	s_load_dwordx2 s[22:23], s[4:5], 0x30
	s_movk_i32 s4, 0x7f
	v_cmp_lt_u32_e64 s[14:15], s4, v0
	s_waitcnt lgkmcnt(0)
	s_barrier
	ds_write_b64 v13, v[8:9]
	s_waitcnt lgkmcnt(0)
	s_barrier
	s_and_saveexec_b64 s[4:5], s[14:15]
	s_cbranch_execz .LBB79_35
; %bb.32:
	v_add_u32_e32 v4, 0xfffffe00, v12
	ds_read_b32 v4, v4
	s_waitcnt lgkmcnt(0)
	v_cmp_eq_u32_e32 vcc, v10, v4
	s_and_saveexec_b64 s[16:17], vcc
	s_cbranch_execz .LBB79_34
; %bb.33:
	v_add_u32_e32 v4, 0xfffffc00, v13
	ds_read_b64 v[4:5], v4
	s_waitcnt lgkmcnt(0)
	v_add_f32_e32 v8, v8, v4
	v_add_f32_e32 v9, v9, v5
.LBB79_34:
	s_or_b64 exec, exec, s[16:17]
.LBB79_35:
	s_or_b64 exec, exec, s[4:5]
	s_movk_i32 s4, 0xff
	v_cmp_gt_u32_e64 s[16:17], s4, v0
	s_barrier
	ds_write_b64 v13, v[8:9]
	s_waitcnt lgkmcnt(0)
	s_barrier
	s_and_saveexec_b64 s[38:39], s[16:17]
	s_cbranch_execz .LBB79_41
; %bb.36:
	ds_read_b32 v4, v12 offset:4
	v_cmp_lt_i32_e64 s[4:5], -1, v10
	s_waitcnt lgkmcnt(0)
	v_cmp_ne_u32_e32 vcc, v10, v4
	s_and_b64 s[4:5], s[4:5], vcc
	s_and_b64 exec, exec, s[4:5]
	s_cbranch_execz .LBB79_41
; %bb.37:
	v_mov_b32_e32 v11, 0
	v_lshlrev_b64 v[4:5], 3, v[10:11]
	v_mov_b32_e32 v10, s23
	v_add_co_u32_e32 v4, vcc, s22, v4
	v_addc_co_u32_e32 v5, vcc, v10, v5, vcc
	global_load_dword v11, v[4:5], off
	v_mul_f32_e64 v19, v9, -v2
	v_fmac_f32_e32 v19, v1, v8
	s_mov_b64 s[4:5], 0
.LBB79_38:                              ; =>This Inner Loop Header: Depth=1
	s_waitcnt vmcnt(0)
	v_add_f32_e32 v10, v11, v19
	global_atomic_cmpswap v10, v[4:5], v[10:11], off glc
	s_waitcnt vmcnt(0)
	v_cmp_eq_u32_e32 vcc, v10, v11
	s_or_b64 s[4:5], vcc, s[4:5]
	v_mov_b32_e32 v11, v10
	s_andn2_b64 exec, exec, s[4:5]
	s_cbranch_execnz .LBB79_38
; %bb.39:
	s_or_b64 exec, exec, s[4:5]
	global_load_dword v10, v[4:5], off offset:4
	v_mul_f32_e32 v11, v1, v9
	v_fmac_f32_e32 v11, v2, v8
	s_mov_b64 s[4:5], 0
.LBB79_40:                              ; =>This Inner Loop Header: Depth=1
	s_waitcnt vmcnt(0)
	v_add_f32_e32 v9, v10, v11
	global_atomic_cmpswap v8, v[4:5], v[9:10], off offset:4 glc
	s_waitcnt vmcnt(0)
	v_cmp_eq_u32_e32 vcc, v8, v10
	s_or_b64 s[4:5], vcc, s[4:5]
	v_mov_b32_e32 v10, v8
	s_andn2_b64 exec, exec, s[4:5]
	s_cbranch_execnz .LBB79_40
.LBB79_41:
	s_or_b64 exec, exec, s[38:39]
	v_add_co_u32_e32 v3, vcc, 0x100, v3
	v_addc_co_u32_e64 v4, s[4:5], 0, 0, vcc
	v_cmp_gt_i64_e32 vcc, s[36:37], v[3:4]
	v_mov_b32_e32 v5, -1
	v_mov_b32_e32 v3, 0
	v_mov_b32_e32 v4, 0
	s_and_saveexec_b64 s[4:5], vcc
	s_cbranch_execz .LBB79_43
; %bb.42:
	v_mov_b32_e32 v4, s27
	v_add_co_u32_e32 v3, vcc, s26, v6
	v_addc_co_u32_e32 v4, vcc, v4, v7, vcc
	global_load_dword v8, v[3:4], off offset:1024 glc slc
	v_mov_b32_e32 v4, s25
	v_add_co_u32_e32 v3, vcc, s24, v6
	v_addc_co_u32_e32 v4, vcc, v4, v7, vcc
	v_mov_b32_e32 v9, s29
	v_add_co_u32_e32 v5, vcc, s28, v6
	v_addc_co_u32_e32 v6, vcc, v9, v7, vcc
	global_load_dword v9, v[3:4], off offset:1024 glc slc
	v_mov_b32_e32 v10, s31
	s_waitcnt vmcnt(1)
	v_subrev_u32_e32 v3, s34, v8
	v_ashrrev_i32_e32 v4, 31, v3
	v_lshlrev_b64 v[3:4], 3, v[3:4]
	v_add_co_u32_e32 v3, vcc, s30, v3
	v_addc_co_u32_e32 v4, vcc, v10, v4, vcc
	global_load_dwordx2 v[7:8], v[3:4], off
	global_load_dword v10, v[5:6], off offset:1024 glc slc
	s_waitcnt vmcnt(2)
	v_subrev_u32_e32 v5, s34, v9
	s_waitcnt vmcnt(1)
	v_mul_f32_e32 v3, 0x80000000, v8
	s_waitcnt vmcnt(0)
	v_mul_f32_e32 v4, v10, v8
	v_fmac_f32_e32 v3, v10, v7
	v_fmac_f32_e32 v4, 0, v7
.LBB79_43:
	s_or_b64 exec, exec, s[4:5]
	s_and_saveexec_b64 s[4:5], s[18:19]
	s_cbranch_execz .LBB79_62
; %bb.44:
	v_mov_b32_e32 v6, 0
	ds_read_b32 v6, v6 offset:3068
	s_waitcnt lgkmcnt(0)
	v_readfirstlane_b32 s24, v6
	v_cmp_ne_u32_e32 vcc, v5, v6
	s_and_saveexec_b64 s[18:19], vcc
	s_xor_b64 s[18:19], exec, s[18:19]
	s_cbranch_execz .LBB79_59
; %bb.45:
	s_cmp_lt_i32 s24, 0
	s_cbranch_scc1 .LBB79_59
; %bb.46:
	v_mov_b32_e32 v6, 0
	ds_read_b64 v[6:7], v6 offset:2040
	s_mov_b64 s[26:27], exec
	v_bfrev_b32_e32 v10, 1
	s_waitcnt lgkmcnt(0)
	v_mul_f32_e64 v8, v7, -v2
	v_fmac_f32_e32 v8, v1, v6
.LBB79_47:                              ; =>This Inner Loop Header: Depth=1
	s_ff1_i32_b64 s25, s[26:27]
	s_lshl_b64 s[28:29], 1, s25
	v_readlane_b32 s30, v8, s25
	s_andn2_b64 s[26:27], s[26:27], s[28:29]
	s_cmp_lg_u64 s[26:27], 0
	v_add_f32_e32 v10, s30, v10
	s_cbranch_scc1 .LBB79_47
; %bb.48:
	s_mov_b32 s25, 0
	s_lshl_b64 s[24:25], s[24:25], 3
	v_mbcnt_lo_u32_b32 v8, exec_lo, 0
	s_add_u32 s24, s22, s24
	v_mbcnt_hi_u32_b32 v8, exec_hi, v8
	s_addc_u32 s25, s23, s25
	v_cmp_eq_u32_e32 vcc, 0, v8
	s_and_saveexec_b64 s[26:27], vcc
	s_xor_b64 s[26:27], exec, s[26:27]
	s_cbranch_execz .LBB79_52
; %bb.49:
	v_mov_b32_e32 v11, 0
	global_load_dword v9, v11, s[24:25]
	s_mov_b64 s[28:29], 0
.LBB79_50:                              ; =>This Inner Loop Header: Depth=1
	s_waitcnt vmcnt(0)
	v_add_f32_e32 v8, v9, v10
	global_atomic_cmpswap v8, v11, v[8:9], s[24:25] glc
	s_waitcnt vmcnt(0)
	v_cmp_eq_u32_e32 vcc, v8, v9
	s_or_b64 s[28:29], vcc, s[28:29]
	v_mov_b32_e32 v9, v8
	s_andn2_b64 exec, exec, s[28:29]
	s_cbranch_execnz .LBB79_50
; %bb.51:
	s_or_b64 exec, exec, s[28:29]
.LBB79_52:
	s_or_b64 exec, exec, s[26:27]
	v_mul_f32_e32 v7, v1, v7
	s_mov_b64 s[26:27], exec
	v_fmac_f32_e32 v7, v2, v6
	v_bfrev_b32_e32 v8, 1
.LBB79_53:                              ; =>This Inner Loop Header: Depth=1
	s_ff1_i32_b64 s28, s[26:27]
	v_readlane_b32 s30, v7, s28
	s_lshl_b64 s[28:29], 1, s28
	s_andn2_b64 s[26:27], s[26:27], s[28:29]
	s_cmp_lg_u64 s[26:27], 0
	v_add_f32_e32 v8, s30, v8
	s_cbranch_scc1 .LBB79_53
; %bb.54:
	v_mbcnt_lo_u32_b32 v6, exec_lo, 0
	v_mbcnt_hi_u32_b32 v6, exec_hi, v6
	v_cmp_eq_u32_e32 vcc, 0, v6
	s_and_saveexec_b64 s[26:27], vcc
	s_xor_b64 s[26:27], exec, s[26:27]
	s_cbranch_execz .LBB79_58
; %bb.55:
	v_mov_b32_e32 v9, 0
	global_load_dword v7, v9, s[24:25] offset:4
	s_mov_b64 s[28:29], 0
.LBB79_56:                              ; =>This Inner Loop Header: Depth=1
	s_waitcnt vmcnt(0)
	v_add_f32_e32 v6, v7, v8
	global_atomic_cmpswap v6, v9, v[6:7], s[24:25] offset:4 glc
	s_waitcnt vmcnt(0)
	v_cmp_eq_u32_e32 vcc, v6, v7
	s_or_b64 s[28:29], vcc, s[28:29]
	v_mov_b32_e32 v7, v6
	s_andn2_b64 exec, exec, s[28:29]
	s_cbranch_execnz .LBB79_56
; %bb.57:
	s_or_b64 exec, exec, s[28:29]
.LBB79_58:
	s_or_b64 exec, exec, s[26:27]
.LBB79_59:
	s_andn2_saveexec_b64 s[18:19], s[18:19]
	s_cbranch_execz .LBB79_61
; %bb.60:
	v_mov_b32_e32 v6, 0
	ds_read_b64 v[6:7], v6 offset:2040
	s_waitcnt lgkmcnt(0)
	v_add_f32_e32 v3, v3, v6
	v_add_f32_e32 v4, v4, v7
.LBB79_61:
	s_or_b64 exec, exec, s[18:19]
.LBB79_62:
	s_or_b64 exec, exec, s[4:5]
	s_barrier
	ds_write_b32 v12, v5
	ds_write_b64 v13, v[3:4]
	s_waitcnt lgkmcnt(0)
	s_barrier
	s_and_saveexec_b64 s[4:5], s[0:1]
	s_cbranch_execz .LBB79_66
; %bb.63:
	ds_read_b32 v6, v14
	s_waitcnt lgkmcnt(0)
	v_cmp_eq_u32_e32 vcc, v5, v6
	s_and_saveexec_b64 s[0:1], vcc
	s_cbranch_execz .LBB79_65
; %bb.64:
	v_add_u32_e32 v6, -8, v13
	ds_read_b64 v[6:7], v6
	s_waitcnt lgkmcnt(0)
	v_add_f32_e32 v3, v3, v6
	v_add_f32_e32 v4, v4, v7
.LBB79_65:
	s_or_b64 exec, exec, s[0:1]
.LBB79_66:
	s_or_b64 exec, exec, s[4:5]
	s_barrier
	ds_write_b64 v13, v[3:4]
	s_waitcnt lgkmcnt(0)
	s_barrier
	s_and_saveexec_b64 s[0:1], s[2:3]
	s_cbranch_execz .LBB79_70
; %bb.67:
	ds_read_b32 v6, v15
	s_waitcnt lgkmcnt(0)
	v_cmp_eq_u32_e32 vcc, v5, v6
	s_and_saveexec_b64 s[2:3], vcc
	s_cbranch_execz .LBB79_69
; %bb.68:
	v_add_u32_e32 v6, -16, v13
	ds_read_b64 v[6:7], v6
	s_waitcnt lgkmcnt(0)
	v_add_f32_e32 v3, v3, v6
	v_add_f32_e32 v4, v4, v7
.LBB79_69:
	s_or_b64 exec, exec, s[2:3]
.LBB79_70:
	s_or_b64 exec, exec, s[0:1]
	s_barrier
	ds_write_b64 v13, v[3:4]
	s_waitcnt lgkmcnt(0)
	s_barrier
	s_and_saveexec_b64 s[0:1], s[20:21]
	s_cbranch_execz .LBB79_74
; %bb.71:
	ds_read_b32 v6, v16
	s_waitcnt lgkmcnt(0)
	v_cmp_eq_u32_e32 vcc, v5, v6
	s_and_saveexec_b64 s[2:3], vcc
	s_cbranch_execz .LBB79_73
; %bb.72:
	v_subrev_u32_e32 v6, 32, v13
	ds_read_b64 v[6:7], v6
	s_waitcnt lgkmcnt(0)
	v_add_f32_e32 v3, v3, v6
	v_add_f32_e32 v4, v4, v7
.LBB79_73:
	s_or_b64 exec, exec, s[2:3]
.LBB79_74:
	s_or_b64 exec, exec, s[0:1]
	s_barrier
	ds_write_b64 v13, v[3:4]
	s_waitcnt lgkmcnt(0)
	s_barrier
	s_and_saveexec_b64 s[0:1], s[6:7]
	s_cbranch_execz .LBB79_78
; %bb.75:
	ds_read_b32 v6, v17
	s_waitcnt lgkmcnt(0)
	v_cmp_eq_u32_e32 vcc, v5, v6
	s_and_saveexec_b64 s[2:3], vcc
	s_cbranch_execz .LBB79_77
; %bb.76:
	v_subrev_u32_e32 v6, 64, v13
	ds_read_b64 v[6:7], v6
	s_waitcnt lgkmcnt(0)
	v_add_f32_e32 v3, v3, v6
	v_add_f32_e32 v4, v4, v7
.LBB79_77:
	s_or_b64 exec, exec, s[2:3]
.LBB79_78:
	s_or_b64 exec, exec, s[0:1]
	s_barrier
	ds_write_b64 v13, v[3:4]
	s_waitcnt lgkmcnt(0)
	s_barrier
	s_and_saveexec_b64 s[0:1], s[8:9]
	s_cbranch_execz .LBB79_82
; %bb.79:
	ds_read_b32 v6, v18
	s_waitcnt lgkmcnt(0)
	v_cmp_eq_u32_e32 vcc, v5, v6
	s_and_saveexec_b64 s[2:3], vcc
	s_cbranch_execz .LBB79_81
; %bb.80:
	v_add_u32_e32 v6, 0xffffff80, v13
	ds_read_b64 v[6:7], v6
	s_waitcnt lgkmcnt(0)
	v_add_f32_e32 v3, v3, v6
	v_add_f32_e32 v4, v4, v7
.LBB79_81:
	s_or_b64 exec, exec, s[2:3]
.LBB79_82:
	s_or_b64 exec, exec, s[0:1]
	s_barrier
	ds_write_b64 v13, v[3:4]
	s_waitcnt lgkmcnt(0)
	s_barrier
	s_and_saveexec_b64 s[0:1], s[10:11]
	s_cbranch_execz .LBB79_86
; %bb.83:
	v_add_u32_e32 v6, 0xffffff80, v12
	ds_read_b32 v6, v6
	s_waitcnt lgkmcnt(0)
	v_cmp_eq_u32_e32 vcc, v5, v6
	s_and_saveexec_b64 s[2:3], vcc
	s_cbranch_execz .LBB79_85
; %bb.84:
	v_add_u32_e32 v6, 0xffffff00, v13
	ds_read_b64 v[6:7], v6
	s_waitcnt lgkmcnt(0)
	v_add_f32_e32 v3, v3, v6
	v_add_f32_e32 v4, v4, v7
.LBB79_85:
	s_or_b64 exec, exec, s[2:3]
.LBB79_86:
	s_or_b64 exec, exec, s[0:1]
	s_barrier
	ds_write_b64 v13, v[3:4]
	s_waitcnt lgkmcnt(0)
	s_barrier
	s_and_saveexec_b64 s[0:1], s[12:13]
	s_cbranch_execz .LBB79_90
; %bb.87:
	v_add_u32_e32 v6, 0xffffff00, v12
	ds_read_b32 v6, v6
	s_waitcnt lgkmcnt(0)
	v_cmp_eq_u32_e32 vcc, v5, v6
	s_and_saveexec_b64 s[2:3], vcc
	s_cbranch_execz .LBB79_89
; %bb.88:
	v_add_u32_e32 v6, 0xfffffe00, v13
	ds_read_b64 v[6:7], v6
	s_waitcnt lgkmcnt(0)
	v_add_f32_e32 v3, v3, v6
	v_add_f32_e32 v4, v4, v7
.LBB79_89:
	s_or_b64 exec, exec, s[2:3]
.LBB79_90:
	;; [unrolled: 23-line block ×3, first 2 shown]
	s_or_b64 exec, exec, s[0:1]
	s_barrier
	ds_write_b64 v13, v[3:4]
	s_waitcnt lgkmcnt(0)
	s_barrier
	s_and_saveexec_b64 s[2:3], s[16:17]
	s_cbranch_execz .LBB79_100
; %bb.95:
	ds_read_b32 v6, v12 offset:4
	v_cmp_lt_i32_e64 s[0:1], -1, v5
	s_waitcnt lgkmcnt(0)
	v_cmp_ne_u32_e32 vcc, v5, v6
	s_and_b64 s[0:1], s[0:1], vcc
	s_and_b64 exec, exec, s[0:1]
	s_cbranch_execz .LBB79_100
; %bb.96:
	v_mov_b32_e32 v6, 0
	v_lshlrev_b64 v[6:7], 3, v[5:6]
	v_mov_b32_e32 v8, s23
	v_add_co_u32_e32 v6, vcc, s22, v6
	v_addc_co_u32_e32 v7, vcc, v8, v7, vcc
	global_load_dword v9, v[6:7], off
	v_mul_f32_e64 v10, v4, -v2
	v_fmac_f32_e32 v10, v1, v3
	s_mov_b64 s[0:1], 0
.LBB79_97:                              ; =>This Inner Loop Header: Depth=1
	s_waitcnt vmcnt(0)
	v_add_f32_e32 v8, v9, v10
	global_atomic_cmpswap v8, v[6:7], v[8:9], off glc
	s_waitcnt vmcnt(0)
	v_cmp_eq_u32_e32 vcc, v8, v9
	s_or_b64 s[0:1], vcc, s[0:1]
	v_mov_b32_e32 v9, v8
	s_andn2_b64 exec, exec, s[0:1]
	s_cbranch_execnz .LBB79_97
; %bb.98:
	s_or_b64 exec, exec, s[0:1]
	global_load_dword v9, v[6:7], off offset:4
	v_mul_f32_e32 v10, v1, v4
	v_fmac_f32_e32 v10, v2, v3
	s_mov_b64 s[0:1], 0
.LBB79_99:                              ; =>This Inner Loop Header: Depth=1
	s_waitcnt vmcnt(0)
	v_add_f32_e32 v8, v9, v10
	global_atomic_cmpswap v8, v[6:7], v[8:9], off offset:4 glc
	s_waitcnt vmcnt(0)
	v_cmp_eq_u32_e32 vcc, v8, v9
	s_or_b64 s[0:1], vcc, s[0:1]
	v_mov_b32_e32 v9, v8
	s_andn2_b64 exec, exec, s[0:1]
	s_cbranch_execnz .LBB79_99
.LBB79_100:
	s_or_b64 exec, exec, s[2:3]
	s_movk_i32 s0, 0xff
	v_cmp_eq_u32_e32 vcc, s0, v0
	v_cmp_lt_i32_e64 s[0:1], -1, v5
	s_and_b64 s[0:1], vcc, s[0:1]
	s_and_b64 exec, exec, s[0:1]
	s_cbranch_execz .LBB79_105
; %bb.101:
	v_mov_b32_e32 v6, 0
	v_lshlrev_b64 v[5:6], 3, v[5:6]
	v_mov_b32_e32 v0, s23
	v_add_co_u32_e32 v5, vcc, s22, v5
	v_addc_co_u32_e32 v6, vcc, v0, v6, vcc
	global_load_dword v8, v[5:6], off
	v_mul_f32_e64 v0, v4, -v2
	v_fmac_f32_e32 v0, v1, v3
	s_mov_b64 s[0:1], 0
.LBB79_102:                             ; =>This Inner Loop Header: Depth=1
	s_waitcnt vmcnt(0)
	v_add_f32_e32 v7, v8, v0
	global_atomic_cmpswap v7, v[5:6], v[7:8], off glc
	s_waitcnt vmcnt(0)
	v_cmp_eq_u32_e32 vcc, v7, v8
	s_or_b64 s[0:1], vcc, s[0:1]
	v_mov_b32_e32 v8, v7
	s_andn2_b64 exec, exec, s[0:1]
	s_cbranch_execnz .LBB79_102
; %bb.103:
	s_or_b64 exec, exec, s[0:1]
	global_load_dword v8, v[5:6], off offset:4
	v_mul_f32_e32 v0, v1, v4
	v_fmac_f32_e32 v0, v2, v3
	s_mov_b64 s[0:1], 0
.LBB79_104:                             ; =>This Inner Loop Header: Depth=1
	s_waitcnt vmcnt(0)
	v_add_f32_e32 v7, v8, v0
	global_atomic_cmpswap v1, v[5:6], v[7:8], off offset:4 glc
	s_waitcnt vmcnt(0)
	v_cmp_eq_u32_e32 vcc, v1, v8
	s_or_b64 s[0:1], vcc, s[0:1]
	v_mov_b32_e32 v8, v1
	s_andn2_b64 exec, exec, s[0:1]
	s_cbranch_execnz .LBB79_104
.LBB79_105:
	s_endpgm
	.section	.rodata,"a",@progbits
	.p2align	6, 0x0
	.amdhsa_kernel _ZN9rocsparseL19coomvn_atomic_loopsILj256ELj2Eif21rocsparse_complex_numIfES2_S2_EEvlNS_24const_host_device_scalarIT5_EEPKT1_S8_PKT2_PKT3_PT4_21rocsparse_index_base_b
		.amdhsa_group_segment_fixed_size 3072
		.amdhsa_private_segment_fixed_size 0
		.amdhsa_kernarg_size 64
		.amdhsa_user_sgpr_count 6
		.amdhsa_user_sgpr_private_segment_buffer 1
		.amdhsa_user_sgpr_dispatch_ptr 0
		.amdhsa_user_sgpr_queue_ptr 0
		.amdhsa_user_sgpr_kernarg_segment_ptr 1
		.amdhsa_user_sgpr_dispatch_id 0
		.amdhsa_user_sgpr_flat_scratch_init 0
		.amdhsa_user_sgpr_private_segment_size 0
		.amdhsa_uses_dynamic_stack 0
		.amdhsa_system_sgpr_private_segment_wavefront_offset 0
		.amdhsa_system_sgpr_workgroup_id_x 1
		.amdhsa_system_sgpr_workgroup_id_y 0
		.amdhsa_system_sgpr_workgroup_id_z 0
		.amdhsa_system_sgpr_workgroup_info 0
		.amdhsa_system_vgpr_workitem_id 0
		.amdhsa_next_free_vgpr 20
		.amdhsa_next_free_sgpr 40
		.amdhsa_reserve_vcc 1
		.amdhsa_reserve_flat_scratch 0
		.amdhsa_float_round_mode_32 0
		.amdhsa_float_round_mode_16_64 0
		.amdhsa_float_denorm_mode_32 3
		.amdhsa_float_denorm_mode_16_64 3
		.amdhsa_dx10_clamp 1
		.amdhsa_ieee_mode 1
		.amdhsa_fp16_overflow 0
		.amdhsa_exception_fp_ieee_invalid_op 0
		.amdhsa_exception_fp_denorm_src 0
		.amdhsa_exception_fp_ieee_div_zero 0
		.amdhsa_exception_fp_ieee_overflow 0
		.amdhsa_exception_fp_ieee_underflow 0
		.amdhsa_exception_fp_ieee_inexact 0
		.amdhsa_exception_int_div_zero 0
	.end_amdhsa_kernel
	.section	.text._ZN9rocsparseL19coomvn_atomic_loopsILj256ELj2Eif21rocsparse_complex_numIfES2_S2_EEvlNS_24const_host_device_scalarIT5_EEPKT1_S8_PKT2_PKT3_PT4_21rocsparse_index_base_b,"axG",@progbits,_ZN9rocsparseL19coomvn_atomic_loopsILj256ELj2Eif21rocsparse_complex_numIfES2_S2_EEvlNS_24const_host_device_scalarIT5_EEPKT1_S8_PKT2_PKT3_PT4_21rocsparse_index_base_b,comdat
.Lfunc_end79:
	.size	_ZN9rocsparseL19coomvn_atomic_loopsILj256ELj2Eif21rocsparse_complex_numIfES2_S2_EEvlNS_24const_host_device_scalarIT5_EEPKT1_S8_PKT2_PKT3_PT4_21rocsparse_index_base_b, .Lfunc_end79-_ZN9rocsparseL19coomvn_atomic_loopsILj256ELj2Eif21rocsparse_complex_numIfES2_S2_EEvlNS_24const_host_device_scalarIT5_EEPKT1_S8_PKT2_PKT3_PT4_21rocsparse_index_base_b
                                        ; -- End function
	.set _ZN9rocsparseL19coomvn_atomic_loopsILj256ELj2Eif21rocsparse_complex_numIfES2_S2_EEvlNS_24const_host_device_scalarIT5_EEPKT1_S8_PKT2_PKT3_PT4_21rocsparse_index_base_b.num_vgpr, 20
	.set _ZN9rocsparseL19coomvn_atomic_loopsILj256ELj2Eif21rocsparse_complex_numIfES2_S2_EEvlNS_24const_host_device_scalarIT5_EEPKT1_S8_PKT2_PKT3_PT4_21rocsparse_index_base_b.num_agpr, 0
	.set _ZN9rocsparseL19coomvn_atomic_loopsILj256ELj2Eif21rocsparse_complex_numIfES2_S2_EEvlNS_24const_host_device_scalarIT5_EEPKT1_S8_PKT2_PKT3_PT4_21rocsparse_index_base_b.numbered_sgpr, 40
	.set _ZN9rocsparseL19coomvn_atomic_loopsILj256ELj2Eif21rocsparse_complex_numIfES2_S2_EEvlNS_24const_host_device_scalarIT5_EEPKT1_S8_PKT2_PKT3_PT4_21rocsparse_index_base_b.num_named_barrier, 0
	.set _ZN9rocsparseL19coomvn_atomic_loopsILj256ELj2Eif21rocsparse_complex_numIfES2_S2_EEvlNS_24const_host_device_scalarIT5_EEPKT1_S8_PKT2_PKT3_PT4_21rocsparse_index_base_b.private_seg_size, 0
	.set _ZN9rocsparseL19coomvn_atomic_loopsILj256ELj2Eif21rocsparse_complex_numIfES2_S2_EEvlNS_24const_host_device_scalarIT5_EEPKT1_S8_PKT2_PKT3_PT4_21rocsparse_index_base_b.uses_vcc, 1
	.set _ZN9rocsparseL19coomvn_atomic_loopsILj256ELj2Eif21rocsparse_complex_numIfES2_S2_EEvlNS_24const_host_device_scalarIT5_EEPKT1_S8_PKT2_PKT3_PT4_21rocsparse_index_base_b.uses_flat_scratch, 0
	.set _ZN9rocsparseL19coomvn_atomic_loopsILj256ELj2Eif21rocsparse_complex_numIfES2_S2_EEvlNS_24const_host_device_scalarIT5_EEPKT1_S8_PKT2_PKT3_PT4_21rocsparse_index_base_b.has_dyn_sized_stack, 0
	.set _ZN9rocsparseL19coomvn_atomic_loopsILj256ELj2Eif21rocsparse_complex_numIfES2_S2_EEvlNS_24const_host_device_scalarIT5_EEPKT1_S8_PKT2_PKT3_PT4_21rocsparse_index_base_b.has_recursion, 0
	.set _ZN9rocsparseL19coomvn_atomic_loopsILj256ELj2Eif21rocsparse_complex_numIfES2_S2_EEvlNS_24const_host_device_scalarIT5_EEPKT1_S8_PKT2_PKT3_PT4_21rocsparse_index_base_b.has_indirect_call, 0
	.section	.AMDGPU.csdata,"",@progbits
; Kernel info:
; codeLenInByte = 3068
; TotalNumSgprs: 44
; NumVgprs: 20
; ScratchSize: 0
; MemoryBound: 0
; FloatMode: 240
; IeeeMode: 1
; LDSByteSize: 3072 bytes/workgroup (compile time only)
; SGPRBlocks: 5
; VGPRBlocks: 4
; NumSGPRsForWavesPerEU: 44
; NumVGPRsForWavesPerEU: 20
; Occupancy: 10
; WaveLimiterHint : 1
; COMPUTE_PGM_RSRC2:SCRATCH_EN: 0
; COMPUTE_PGM_RSRC2:USER_SGPR: 6
; COMPUTE_PGM_RSRC2:TRAP_HANDLER: 0
; COMPUTE_PGM_RSRC2:TGID_X_EN: 1
; COMPUTE_PGM_RSRC2:TGID_Y_EN: 0
; COMPUTE_PGM_RSRC2:TGID_Z_EN: 0
; COMPUTE_PGM_RSRC2:TIDIG_COMP_CNT: 0
	.section	.text._ZN9rocsparseL22coomvn_segmented_loopsILj256Elf21rocsparse_complex_numIfES2_S2_EEvlT0_NS_24const_host_device_scalarIT4_EEPKS3_S8_PKT1_PKT2_PT3_PS3_PS5_21rocsparse_index_base_b,"axG",@progbits,_ZN9rocsparseL22coomvn_segmented_loopsILj256Elf21rocsparse_complex_numIfES2_S2_EEvlT0_NS_24const_host_device_scalarIT4_EEPKS3_S8_PKT1_PKT2_PT3_PS3_PS5_21rocsparse_index_base_b,comdat
	.globl	_ZN9rocsparseL22coomvn_segmented_loopsILj256Elf21rocsparse_complex_numIfES2_S2_EEvlT0_NS_24const_host_device_scalarIT4_EEPKS3_S8_PKT1_PKT2_PT3_PS3_PS5_21rocsparse_index_base_b ; -- Begin function _ZN9rocsparseL22coomvn_segmented_loopsILj256Elf21rocsparse_complex_numIfES2_S2_EEvlT0_NS_24const_host_device_scalarIT4_EEPKS3_S8_PKT1_PKT2_PT3_PS3_PS5_21rocsparse_index_base_b
	.p2align	8
	.type	_ZN9rocsparseL22coomvn_segmented_loopsILj256Elf21rocsparse_complex_numIfES2_S2_EEvlT0_NS_24const_host_device_scalarIT4_EEPKS3_S8_PKT1_PKT2_PT3_PS3_PS5_21rocsparse_index_base_b,@function
_ZN9rocsparseL22coomvn_segmented_loopsILj256Elf21rocsparse_complex_numIfES2_S2_EEvlT0_NS_24const_host_device_scalarIT4_EEPKS3_S8_PKT1_PKT2_PT3_PS3_PS5_21rocsparse_index_base_b: ; @_ZN9rocsparseL22coomvn_segmented_loopsILj256Elf21rocsparse_complex_numIfES2_S2_EEvlT0_NS_24const_host_device_scalarIT4_EEPKS3_S8_PKT1_PKT2_PT3_PS3_PS5_21rocsparse_index_base_b
; %bb.0:
	s_load_dwordx2 s[34:35], s[4:5], 0x50
	s_load_dwordx2 s[0:1], s[4:5], 0x10
	s_add_u32 s2, s4, 16
	s_addc_u32 s3, s5, 0
	s_mov_b32 s7, 0
	s_waitcnt lgkmcnt(0)
	s_bitcmp1_b32 s35, 0
	s_cselect_b32 s1, s3, s1
	s_cselect_b32 s0, s2, s0
	v_mov_b32_e32 v1, s0
	v_mov_b32_e32 v2, s1
	flat_load_dwordx2 v[1:2], v[1:2]
	s_waitcnt vmcnt(0) lgkmcnt(0)
	v_cmp_neq_f32_e32 vcc, 0, v1
	v_cmp_neq_f32_e64 s[0:1], 0, v2
	s_or_b64 s[0:1], vcc, s[0:1]
	s_and_saveexec_b64 s[2:3], s[0:1]
	s_cbranch_execz .LBB80_87
; %bb.1:
	s_load_dwordx4 s[28:31], s[4:5], 0x0
	s_load_dwordx8 s[36:43], s[4:5], 0x18
	v_mov_b32_e32 v3, 0
	v_mov_b32_e32 v5, -1
	v_mov_b32_e32 v6, -1
	s_waitcnt lgkmcnt(0)
	s_mul_i32 s1, s6, s31
	s_mul_hi_u32 s2, s6, s30
	s_mul_i32 s0, s6, s30
	s_add_i32 s1, s2, s1
	s_lshl_b64 s[0:1], s[0:1], 8
	v_or_b32_e32 v9, s0, v0
	v_mov_b32_e32 v10, s1
	v_cmp_gt_i64_e32 vcc, s[28:29], v[9:10]
	v_mov_b32_e32 v4, v3
	s_and_saveexec_b64 s[0:1], vcc
	s_cbranch_execz .LBB80_3
; %bb.2:
	v_lshlrev_b64 v[3:4], 3, v[9:10]
	v_mov_b32_e32 v6, s39
	v_add_co_u32_e32 v5, vcc, s38, v3
	v_addc_co_u32_e32 v6, vcc, v6, v4, vcc
	global_load_dwordx2 v[5:6], v[5:6], off glc slc
	v_mov_b32_e32 v11, s37
	v_lshlrev_b64 v[7:8], 2, v[9:10]
	v_add_co_u32_e32 v3, vcc, s36, v3
	v_addc_co_u32_e32 v4, vcc, v11, v4, vcc
	v_mov_b32_e32 v12, s41
	v_add_co_u32_e32 v7, vcc, s40, v7
	v_addc_co_u32_e32 v8, vcc, v12, v8, vcc
	v_mov_b32_e32 v13, s43
	s_ashr_i32 s35, s34, 31
	s_lshl_b64 s[2:3], s[34:35], 3
	v_mov_b32_e32 v11, s3
	global_load_dwordx2 v[3:4], v[3:4], off glc slc
	s_waitcnt vmcnt(1)
	v_lshlrev_b64 v[5:6], 3, v[5:6]
	v_add_co_u32_e32 v5, vcc, s42, v5
	v_addc_co_u32_e32 v6, vcc, v13, v6, vcc
	v_subrev_co_u32_e32 v5, vcc, s2, v5
	v_subb_co_u32_e32 v6, vcc, v6, v11, vcc
	global_load_dwordx2 v[11:12], v[5:6], off
	global_load_dword v13, v[7:8], off glc slc
	s_waitcnt vmcnt(2)
	v_subrev_co_u32_e32 v5, vcc, s34, v3
	v_subbrev_co_u32_e32 v6, vcc, 0, v4, vcc
	s_waitcnt vmcnt(1)
	v_mul_f32_e32 v3, 0x80000000, v12
	s_waitcnt vmcnt(0)
	v_mul_f32_e32 v4, v13, v12
	v_fmac_f32_e32 v3, v13, v11
	v_fmac_f32_e32 v4, 0, v11
.LBB80_3:
	s_or_b64 exec, exec, s[0:1]
	v_lshlrev_b32_e32 v17, 3, v0
	v_or_b32_e32 v18, 0x800, v17
	v_cmp_eq_u32_e64 s[0:1], 0, v0
	v_cmp_ne_u32_e64 s[2:3], 0, v0
	v_add_u32_e32 v19, -8, v17
	ds_write2st64_b64 v17, v[5:6], v[3:4] offset1:4
	s_waitcnt lgkmcnt(0)
	s_barrier
	s_and_saveexec_b64 s[8:9], s[2:3]
	s_cbranch_execz .LBB80_7
; %bb.4:
	ds_read_b64 v[7:8], v19
	s_waitcnt lgkmcnt(0)
	v_cmp_eq_u64_e32 vcc, v[5:6], v[7:8]
	s_and_saveexec_b64 s[10:11], vcc
	s_cbranch_execz .LBB80_6
; %bb.5:
	v_add_u32_e32 v7, -8, v18
	ds_read_b64 v[7:8], v7
	s_waitcnt lgkmcnt(0)
	v_add_f32_e32 v3, v3, v7
	v_add_f32_e32 v4, v4, v8
.LBB80_6:
	s_or_b64 exec, exec, s[10:11]
.LBB80_7:
	s_or_b64 exec, exec, s[8:9]
	v_cmp_lt_u32_e64 s[22:23], 1, v0
	v_add_u32_e32 v20, -16, v17
	s_barrier
	ds_write_b64 v18, v[3:4]
	s_waitcnt lgkmcnt(0)
	s_barrier
	s_and_saveexec_b64 s[8:9], s[22:23]
	s_cbranch_execz .LBB80_11
; %bb.8:
	ds_read_b64 v[7:8], v20
	s_waitcnt lgkmcnt(0)
	v_cmp_eq_u64_e32 vcc, v[5:6], v[7:8]
	s_and_saveexec_b64 s[10:11], vcc
	s_cbranch_execz .LBB80_10
; %bb.9:
	v_add_u32_e32 v7, -16, v18
	ds_read_b64 v[7:8], v7
	s_waitcnt lgkmcnt(0)
	v_add_f32_e32 v3, v3, v7
	v_add_f32_e32 v4, v4, v8
.LBB80_10:
	s_or_b64 exec, exec, s[10:11]
.LBB80_11:
	s_or_b64 exec, exec, s[8:9]
	v_cmp_lt_u32_e64 s[8:9], 3, v0
	v_subrev_u32_e32 v21, 32, v17
	s_barrier
	ds_write_b64 v18, v[3:4]
	s_waitcnt lgkmcnt(0)
	s_barrier
	s_and_saveexec_b64 s[10:11], s[8:9]
	s_cbranch_execz .LBB80_15
; %bb.12:
	ds_read_b64 v[7:8], v21
	s_waitcnt lgkmcnt(0)
	v_cmp_eq_u64_e32 vcc, v[5:6], v[7:8]
	s_and_saveexec_b64 s[12:13], vcc
	s_cbranch_execz .LBB80_14
; %bb.13:
	v_subrev_u32_e32 v7, 32, v18
	ds_read_b64 v[7:8], v7
	s_waitcnt lgkmcnt(0)
	v_add_f32_e32 v3, v3, v7
	v_add_f32_e32 v4, v4, v8
.LBB80_14:
	s_or_b64 exec, exec, s[12:13]
.LBB80_15:
	s_or_b64 exec, exec, s[10:11]
	v_cmp_lt_u32_e64 s[10:11], 7, v0
	v_subrev_u32_e32 v22, 64, v17
	s_barrier
	ds_write_b64 v18, v[3:4]
	s_waitcnt lgkmcnt(0)
	s_barrier
	s_and_saveexec_b64 s[12:13], s[10:11]
	s_cbranch_execz .LBB80_19
; %bb.16:
	ds_read_b64 v[7:8], v22
	s_waitcnt lgkmcnt(0)
	v_cmp_eq_u64_e32 vcc, v[5:6], v[7:8]
	s_and_saveexec_b64 s[14:15], vcc
	s_cbranch_execz .LBB80_18
; %bb.17:
	v_subrev_u32_e32 v7, 64, v18
	ds_read_b64 v[7:8], v7
	s_waitcnt lgkmcnt(0)
	v_add_f32_e32 v3, v3, v7
	v_add_f32_e32 v4, v4, v8
.LBB80_18:
	s_or_b64 exec, exec, s[14:15]
.LBB80_19:
	s_or_b64 exec, exec, s[12:13]
	v_cmp_lt_u32_e64 s[12:13], 15, v0
	s_barrier
	ds_write_b64 v18, v[3:4]
	s_waitcnt lgkmcnt(0)
	s_barrier
	s_and_saveexec_b64 s[14:15], s[12:13]
	s_cbranch_execz .LBB80_23
; %bb.20:
	v_add_u32_e32 v7, 0xffffff80, v17
	ds_read_b64 v[7:8], v7
	s_waitcnt lgkmcnt(0)
	v_cmp_eq_u64_e32 vcc, v[5:6], v[7:8]
	s_and_saveexec_b64 s[16:17], vcc
	s_cbranch_execz .LBB80_22
; %bb.21:
	v_add_u32_e32 v7, 0xffffff80, v18
	ds_read_b64 v[7:8], v7
	s_waitcnt lgkmcnt(0)
	v_add_f32_e32 v3, v3, v7
	v_add_f32_e32 v4, v4, v8
.LBB80_22:
	s_or_b64 exec, exec, s[16:17]
.LBB80_23:
	s_or_b64 exec, exec, s[14:15]
	v_cmp_lt_u32_e64 s[14:15], 31, v0
	s_barrier
	ds_write_b64 v18, v[3:4]
	s_waitcnt lgkmcnt(0)
	s_barrier
	s_and_saveexec_b64 s[16:17], s[14:15]
	s_cbranch_execz .LBB80_27
; %bb.24:
	v_add_u32_e32 v7, 0xffffff00, v17
	ds_read_b64 v[7:8], v7
	s_waitcnt lgkmcnt(0)
	v_cmp_eq_u64_e32 vcc, v[5:6], v[7:8]
	s_and_saveexec_b64 s[18:19], vcc
	s_cbranch_execz .LBB80_26
; %bb.25:
	v_add_u32_e32 v7, 0xffffff00, v18
	ds_read_b64 v[7:8], v7
	s_waitcnt lgkmcnt(0)
	v_add_f32_e32 v3, v3, v7
	v_add_f32_e32 v4, v4, v8
.LBB80_26:
	s_or_b64 exec, exec, s[18:19]
.LBB80_27:
	;; [unrolled: 24-line block ×3, first 2 shown]
	s_or_b64 exec, exec, s[18:19]
	s_load_dwordx2 s[44:45], s[4:5], 0x38
	s_movk_i32 s18, 0x7f
	v_cmp_lt_u32_e64 s[18:19], s18, v0
	s_waitcnt lgkmcnt(0)
	s_barrier
	ds_write_b64 v18, v[3:4]
	s_waitcnt lgkmcnt(0)
	s_barrier
	s_and_saveexec_b64 s[20:21], s[18:19]
	s_cbranch_execz .LBB80_35
; %bb.32:
	v_add_u32_e32 v7, 0xfffffc00, v17
	ds_read_b64 v[7:8], v7
	s_waitcnt lgkmcnt(0)
	v_cmp_eq_u64_e32 vcc, v[5:6], v[7:8]
	s_and_saveexec_b64 s[24:25], vcc
	s_cbranch_execz .LBB80_34
; %bb.33:
	v_add_u32_e32 v7, 0xfffffc00, v18
	ds_read_b64 v[7:8], v7
	s_waitcnt lgkmcnt(0)
	v_add_f32_e32 v3, v3, v7
	v_add_f32_e32 v4, v4, v8
.LBB80_34:
	s_or_b64 exec, exec, s[24:25]
.LBB80_35:
	s_or_b64 exec, exec, s[20:21]
	s_movk_i32 s20, 0xff
	v_cmp_gt_u32_e64 s[20:21], s20, v0
	s_barrier
	ds_write_b64 v18, v[3:4]
	s_waitcnt lgkmcnt(0)
	s_barrier
	s_and_saveexec_b64 s[26:27], s[20:21]
	s_cbranch_execz .LBB80_38
; %bb.36:
	ds_read_b64 v[7:8], v17 offset:8
	v_cmp_lt_i64_e64 s[24:25], -1, v[5:6]
	s_waitcnt lgkmcnt(0)
	v_cmp_ne_u64_e32 vcc, v[5:6], v[7:8]
	s_and_b64 s[24:25], s[24:25], vcc
	s_and_b64 exec, exec, s[24:25]
	s_cbranch_execz .LBB80_38
; %bb.37:
	v_lshlrev_b64 v[7:8], 3, v[5:6]
	v_mov_b32_e32 v11, s45
	v_add_co_u32_e32 v7, vcc, s44, v7
	v_addc_co_u32_e32 v8, vcc, v11, v8, vcc
	global_load_dwordx2 v[11:12], v[7:8], off
	s_waitcnt vmcnt(0)
	v_fma_f32 v11, v1, v3, v11
	v_fmac_f32_e32 v12, v2, v3
	v_fma_f32 v11, -v2, v4, v11
	v_fmac_f32_e32 v12, v1, v4
	global_store_dwordx2 v[7:8], v[11:12], off
.LBB80_38:
	s_or_b64 exec, exec, s[26:27]
	s_load_dwordx4 s[24:27], s[4:5], 0x40
	v_cmp_lt_i64_e64 s[4:5], s[30:31], 2
	s_and_b64 vcc, exec, s[4:5]
	s_cbranch_vccnz .LBB80_85
; %bb.39:
	s_add_u32 s46, s30, -1
	s_addc_u32 s47, s31, -1
	s_ashr_i32 s35, s34, 31
	s_lshl_b64 s[4:5], s[34:35], 3
	s_sub_u32 s33, s42, s4
	s_subb_u32 s35, s43, s5
	s_mul_i32 s4, s31, s6
	s_mul_hi_u32 s5, s30, s6
	s_add_i32 s5, s5, s4
	s_mul_i32 s4, s30, s6
	s_lshl_b64 s[30:31], s[4:5], 11
	v_lshl_or_b32 v3, v0, 3, s30
	s_movk_i32 s30, 0x800
	v_mov_b32_e32 v4, s31
	v_add_co_u32_e32 v3, vcc, s30, v3
	v_addc_co_u32_e32 v4, vcc, 0, v4, vcc
	v_mov_b32_e32 v5, s39
	v_add_co_u32_e32 v7, vcc, s38, v3
	v_addc_co_u32_e32 v8, vcc, v5, v4, vcc
	v_mov_b32_e32 v6, s37
	v_add_co_u32_e32 v11, vcc, s36, v3
	s_lshl_b64 s[4:5], s[4:5], 10
	v_addc_co_u32_e32 v12, vcc, v6, v4, vcc
	s_movk_i32 s30, 0x100
	s_add_u32 s4, s40, s4
	v_add_co_u32_e32 v9, vcc, s30, v9
	v_lshlrev_b32_e32 v5, 2, v0
	s_addc_u32 s5, s41, s5
	v_addc_co_u32_e32 v10, vcc, 0, v10, vcc
	v_mov_b32_e32 v3, s5
	v_add_co_u32_e32 v4, vcc, s4, v5
	v_addc_co_u32_e32 v3, vcc, 0, v3, vcc
	s_movk_i32 s4, 0x400
	v_add_co_u32_e32 v13, vcc, s4, v4
	v_add_u32_e32 v23, -16, v18
	v_subrev_u32_e32 v24, 32, v18
	v_subrev_u32_e32 v25, 64, v18
	v_add_u32_e32 v26, 0xffffff80, v17
	v_add_u32_e32 v27, 0xffffff80, v18
	;; [unrolled: 1-line block ×4, first 2 shown]
	v_addc_co_u32_e32 v14, vcc, 0, v3, vcc
	v_add_u32_e32 v30, 0xfffffe00, v17
	s_mov_b64 s[30:31], 0
	v_add_u32_e32 v31, 0xfffffe00, v18
	v_add_u32_e32 v32, 0xfffffc00, v17
	;; [unrolled: 1-line block ×3, first 2 shown]
	v_mov_b32_e32 v34, 0
	s_branch .LBB80_41
.LBB80_40:                              ;   in Loop: Header=BB80_41 Depth=1
	s_or_b64 exec, exec, s[36:37]
	v_add_co_u32_e32 v7, vcc, 0x800, v7
	v_addc_co_u32_e32 v8, vcc, 0, v8, vcc
	v_add_co_u32_e32 v13, vcc, 0x400, v13
	v_addc_co_u32_e32 v14, vcc, 0, v14, vcc
	s_add_u32 s30, s30, 1
	v_add_co_u32_e32 v11, vcc, 0x800, v11
	s_addc_u32 s31, s31, 0
	v_mov_b32_e32 v15, s30
	v_addc_co_u32_e32 v12, vcc, 0, v12, vcc
	v_mov_b32_e32 v16, s31
	v_add_co_u32_e32 v9, vcc, 0x100, v9
	v_cmp_le_u64_e64 s[4:5], s[46:47], v[15:16]
	v_addc_co_u32_e32 v10, vcc, 0, v10, vcc
	s_and_b64 vcc, exec, s[4:5]
	s_cbranch_vccnz .LBB80_85
.LBB80_41:                              ; =>This Inner Loop Header: Depth=1
	v_cmp_gt_i64_e32 vcc, s[28:29], v[9:10]
	v_mov_b32_e32 v5, -1
	v_mov_b32_e32 v6, -1
	v_mov_b32_e32 v3, 0
	v_mov_b32_e32 v4, 0
	s_and_saveexec_b64 s[4:5], vcc
	s_cbranch_execz .LBB80_43
; %bb.42:                               ;   in Loop: Header=BB80_41 Depth=1
	global_load_dwordx2 v[3:4], v[7:8], off glc slc
	global_load_dwordx2 v[5:6], v[11:12], off glc slc
	v_mov_b32_e32 v15, s35
	s_waitcnt vmcnt(1)
	v_lshlrev_b64 v[3:4], 3, v[3:4]
	v_add_co_u32_e32 v3, vcc, s33, v3
	v_addc_co_u32_e32 v4, vcc, v15, v4, vcc
	global_load_dwordx2 v[15:16], v[3:4], off
	global_load_dword v35, v[13:14], off glc slc
	s_waitcnt vmcnt(2)
	v_subrev_co_u32_e32 v5, vcc, s34, v5
	v_subbrev_co_u32_e32 v6, vcc, 0, v6, vcc
	s_waitcnt vmcnt(1)
	v_mul_f32_e32 v3, 0x80000000, v16
	s_waitcnt vmcnt(0)
	v_mul_f32_e32 v4, v35, v16
	v_fmac_f32_e32 v3, v35, v15
	v_fmac_f32_e32 v4, 0, v15
.LBB80_43:                              ;   in Loop: Header=BB80_41 Depth=1
	s_or_b64 exec, exec, s[4:5]
	s_and_saveexec_b64 s[4:5], s[0:1]
	s_cbranch_execz .LBB80_50
; %bb.44:                               ;   in Loop: Header=BB80_41 Depth=1
	ds_read_b64 v[15:16], v34 offset:2040
	s_waitcnt lgkmcnt(0)
	v_cmp_ne_u64_e32 vcc, v[5:6], v[15:16]
	s_and_saveexec_b64 s[36:37], vcc
	s_xor_b64 s[36:37], exec, s[36:37]
	s_cbranch_execz .LBB80_47
; %bb.45:                               ;   in Loop: Header=BB80_41 Depth=1
	v_cmp_gt_i64_e32 vcc, 0, v[15:16]
	s_cbranch_vccnz .LBB80_47
; %bb.46:                               ;   in Loop: Header=BB80_41 Depth=1
	v_lshlrev_b64 v[15:16], 3, v[15:16]
	v_mov_b32_e32 v35, s45
	v_add_co_u32_e32 v15, vcc, s44, v15
	v_addc_co_u32_e32 v16, vcc, v35, v16, vcc
	global_load_dwordx2 v[35:36], v[15:16], off
	ds_read_b64 v[37:38], v34 offset:4088
	s_waitcnt vmcnt(0) lgkmcnt(0)
	v_fma_f32 v35, v1, v37, v35
	v_fmac_f32_e32 v36, v2, v37
	v_fma_f32 v35, -v2, v38, v35
	v_fmac_f32_e32 v36, v1, v38
	global_store_dwordx2 v[15:16], v[35:36], off
.LBB80_47:                              ;   in Loop: Header=BB80_41 Depth=1
	s_andn2_saveexec_b64 s[36:37], s[36:37]
	s_cbranch_execz .LBB80_49
; %bb.48:                               ;   in Loop: Header=BB80_41 Depth=1
	ds_read_b64 v[15:16], v34 offset:4088
	s_waitcnt lgkmcnt(0)
	v_add_f32_e32 v3, v3, v15
	v_add_f32_e32 v4, v4, v16
.LBB80_49:                              ;   in Loop: Header=BB80_41 Depth=1
	s_or_b64 exec, exec, s[36:37]
.LBB80_50:                              ;   in Loop: Header=BB80_41 Depth=1
	s_or_b64 exec, exec, s[4:5]
	s_waitcnt vmcnt(0) lgkmcnt(0)
	s_barrier
	ds_write_b64 v17, v[5:6]
	ds_write_b64 v18, v[3:4]
	s_waitcnt lgkmcnt(0)
	s_barrier
	s_and_saveexec_b64 s[4:5], s[2:3]
	s_cbranch_execz .LBB80_54
; %bb.51:                               ;   in Loop: Header=BB80_41 Depth=1
	ds_read_b64 v[15:16], v19
	s_waitcnt lgkmcnt(0)
	v_cmp_eq_u64_e32 vcc, v[5:6], v[15:16]
	s_and_saveexec_b64 s[36:37], vcc
	s_cbranch_execz .LBB80_53
; %bb.52:                               ;   in Loop: Header=BB80_41 Depth=1
	v_add_u32_e32 v15, -8, v18
	ds_read_b64 v[15:16], v15
	s_waitcnt lgkmcnt(0)
	v_add_f32_e32 v3, v3, v15
	v_add_f32_e32 v4, v4, v16
.LBB80_53:                              ;   in Loop: Header=BB80_41 Depth=1
	s_or_b64 exec, exec, s[36:37]
.LBB80_54:                              ;   in Loop: Header=BB80_41 Depth=1
	s_or_b64 exec, exec, s[4:5]
	s_barrier
	ds_write_b64 v18, v[3:4]
	s_waitcnt lgkmcnt(0)
	s_barrier
	s_and_saveexec_b64 s[4:5], s[22:23]
	s_cbranch_execz .LBB80_58
; %bb.55:                               ;   in Loop: Header=BB80_41 Depth=1
	ds_read_b64 v[15:16], v20
	s_waitcnt lgkmcnt(0)
	v_cmp_eq_u64_e32 vcc, v[5:6], v[15:16]
	s_and_saveexec_b64 s[36:37], vcc
	s_cbranch_execz .LBB80_57
; %bb.56:                               ;   in Loop: Header=BB80_41 Depth=1
	ds_read_b64 v[15:16], v23
	s_waitcnt lgkmcnt(0)
	v_add_f32_e32 v3, v3, v15
	v_add_f32_e32 v4, v4, v16
.LBB80_57:                              ;   in Loop: Header=BB80_41 Depth=1
	s_or_b64 exec, exec, s[36:37]
.LBB80_58:                              ;   in Loop: Header=BB80_41 Depth=1
	s_or_b64 exec, exec, s[4:5]
	s_barrier
	ds_write_b64 v18, v[3:4]
	s_waitcnt lgkmcnt(0)
	s_barrier
	s_and_saveexec_b64 s[4:5], s[8:9]
	s_cbranch_execz .LBB80_62
; %bb.59:                               ;   in Loop: Header=BB80_41 Depth=1
	ds_read_b64 v[15:16], v21
	s_waitcnt lgkmcnt(0)
	v_cmp_eq_u64_e32 vcc, v[5:6], v[15:16]
	s_and_saveexec_b64 s[36:37], vcc
	s_cbranch_execz .LBB80_61
; %bb.60:                               ;   in Loop: Header=BB80_41 Depth=1
	ds_read_b64 v[15:16], v24
	s_waitcnt lgkmcnt(0)
	v_add_f32_e32 v3, v3, v15
	v_add_f32_e32 v4, v4, v16
.LBB80_61:                              ;   in Loop: Header=BB80_41 Depth=1
	s_or_b64 exec, exec, s[36:37]
.LBB80_62:                              ;   in Loop: Header=BB80_41 Depth=1
	;; [unrolled: 21-line block ×7, first 2 shown]
	s_or_b64 exec, exec, s[4:5]
	s_barrier
	ds_write_b64 v18, v[3:4]
	s_waitcnt lgkmcnt(0)
	s_barrier
	s_and_saveexec_b64 s[36:37], s[20:21]
	s_cbranch_execz .LBB80_40
; %bb.83:                               ;   in Loop: Header=BB80_41 Depth=1
	ds_read_b64 v[15:16], v17 offset:8
	v_cmp_lt_i64_e64 s[4:5], -1, v[5:6]
	s_waitcnt lgkmcnt(0)
	v_cmp_ne_u64_e32 vcc, v[5:6], v[15:16]
	s_and_b64 s[4:5], s[4:5], vcc
	s_and_b64 exec, exec, s[4:5]
	s_cbranch_execz .LBB80_40
; %bb.84:                               ;   in Loop: Header=BB80_41 Depth=1
	v_lshlrev_b64 v[15:16], 3, v[5:6]
	v_mov_b32_e32 v35, s45
	v_add_co_u32_e32 v15, vcc, s44, v15
	v_addc_co_u32_e32 v16, vcc, v35, v16, vcc
	global_load_dwordx2 v[35:36], v[15:16], off
	s_waitcnt vmcnt(0)
	v_fma_f32 v35, v1, v3, v35
	v_fmac_f32_e32 v36, v2, v3
	v_fma_f32 v35, -v2, v4, v35
	v_fmac_f32_e32 v36, v1, v4
	global_store_dwordx2 v[15:16], v[35:36], off
	s_branch .LBB80_40
.LBB80_85:
	s_movk_i32 s0, 0xff
	v_cmp_eq_u32_e32 vcc, s0, v0
	s_and_b64 exec, exec, vcc
	s_cbranch_execz .LBB80_87
; %bb.86:
	s_lshl_b64 s[0:1], s[6:7], 3
	s_waitcnt lgkmcnt(0)
	s_add_u32 s2, s26, s0
	s_addc_u32 s3, s27, s1
	s_add_u32 s0, s24, s0
	v_mov_b32_e32 v0, 0
	v_mul_f32_e32 v8, v1, v4
	v_mul_f32_e64 v7, v4, -v2
	s_addc_u32 s1, s25, s1
	v_fmac_f32_e32 v8, v2, v3
	v_fmac_f32_e32 v7, v1, v3
	global_store_dwordx2 v0, v[5:6], s[0:1] glc slc
	global_store_dwordx2 v0, v[7:8], s[2:3] glc slc
.LBB80_87:
	s_endpgm
	.section	.rodata,"a",@progbits
	.p2align	6, 0x0
	.amdhsa_kernel _ZN9rocsparseL22coomvn_segmented_loopsILj256Elf21rocsparse_complex_numIfES2_S2_EEvlT0_NS_24const_host_device_scalarIT4_EEPKS3_S8_PKT1_PKT2_PT3_PS3_PS5_21rocsparse_index_base_b
		.amdhsa_group_segment_fixed_size 4096
		.amdhsa_private_segment_fixed_size 0
		.amdhsa_kernarg_size 88
		.amdhsa_user_sgpr_count 6
		.amdhsa_user_sgpr_private_segment_buffer 1
		.amdhsa_user_sgpr_dispatch_ptr 0
		.amdhsa_user_sgpr_queue_ptr 0
		.amdhsa_user_sgpr_kernarg_segment_ptr 1
		.amdhsa_user_sgpr_dispatch_id 0
		.amdhsa_user_sgpr_flat_scratch_init 0
		.amdhsa_user_sgpr_private_segment_size 0
		.amdhsa_uses_dynamic_stack 0
		.amdhsa_system_sgpr_private_segment_wavefront_offset 0
		.amdhsa_system_sgpr_workgroup_id_x 1
		.amdhsa_system_sgpr_workgroup_id_y 0
		.amdhsa_system_sgpr_workgroup_id_z 0
		.amdhsa_system_sgpr_workgroup_info 0
		.amdhsa_system_vgpr_workitem_id 0
		.amdhsa_next_free_vgpr 39
		.amdhsa_next_free_sgpr 48
		.amdhsa_reserve_vcc 1
		.amdhsa_reserve_flat_scratch 0
		.amdhsa_float_round_mode_32 0
		.amdhsa_float_round_mode_16_64 0
		.amdhsa_float_denorm_mode_32 3
		.amdhsa_float_denorm_mode_16_64 3
		.amdhsa_dx10_clamp 1
		.amdhsa_ieee_mode 1
		.amdhsa_fp16_overflow 0
		.amdhsa_exception_fp_ieee_invalid_op 0
		.amdhsa_exception_fp_denorm_src 0
		.amdhsa_exception_fp_ieee_div_zero 0
		.amdhsa_exception_fp_ieee_overflow 0
		.amdhsa_exception_fp_ieee_underflow 0
		.amdhsa_exception_fp_ieee_inexact 0
		.amdhsa_exception_int_div_zero 0
	.end_amdhsa_kernel
	.section	.text._ZN9rocsparseL22coomvn_segmented_loopsILj256Elf21rocsparse_complex_numIfES2_S2_EEvlT0_NS_24const_host_device_scalarIT4_EEPKS3_S8_PKT1_PKT2_PT3_PS3_PS5_21rocsparse_index_base_b,"axG",@progbits,_ZN9rocsparseL22coomvn_segmented_loopsILj256Elf21rocsparse_complex_numIfES2_S2_EEvlT0_NS_24const_host_device_scalarIT4_EEPKS3_S8_PKT1_PKT2_PT3_PS3_PS5_21rocsparse_index_base_b,comdat
.Lfunc_end80:
	.size	_ZN9rocsparseL22coomvn_segmented_loopsILj256Elf21rocsparse_complex_numIfES2_S2_EEvlT0_NS_24const_host_device_scalarIT4_EEPKS3_S8_PKT1_PKT2_PT3_PS3_PS5_21rocsparse_index_base_b, .Lfunc_end80-_ZN9rocsparseL22coomvn_segmented_loopsILj256Elf21rocsparse_complex_numIfES2_S2_EEvlT0_NS_24const_host_device_scalarIT4_EEPKS3_S8_PKT1_PKT2_PT3_PS3_PS5_21rocsparse_index_base_b
                                        ; -- End function
	.set _ZN9rocsparseL22coomvn_segmented_loopsILj256Elf21rocsparse_complex_numIfES2_S2_EEvlT0_NS_24const_host_device_scalarIT4_EEPKS3_S8_PKT1_PKT2_PT3_PS3_PS5_21rocsparse_index_base_b.num_vgpr, 39
	.set _ZN9rocsparseL22coomvn_segmented_loopsILj256Elf21rocsparse_complex_numIfES2_S2_EEvlT0_NS_24const_host_device_scalarIT4_EEPKS3_S8_PKT1_PKT2_PT3_PS3_PS5_21rocsparse_index_base_b.num_agpr, 0
	.set _ZN9rocsparseL22coomvn_segmented_loopsILj256Elf21rocsparse_complex_numIfES2_S2_EEvlT0_NS_24const_host_device_scalarIT4_EEPKS3_S8_PKT1_PKT2_PT3_PS3_PS5_21rocsparse_index_base_b.numbered_sgpr, 48
	.set _ZN9rocsparseL22coomvn_segmented_loopsILj256Elf21rocsparse_complex_numIfES2_S2_EEvlT0_NS_24const_host_device_scalarIT4_EEPKS3_S8_PKT1_PKT2_PT3_PS3_PS5_21rocsparse_index_base_b.num_named_barrier, 0
	.set _ZN9rocsparseL22coomvn_segmented_loopsILj256Elf21rocsparse_complex_numIfES2_S2_EEvlT0_NS_24const_host_device_scalarIT4_EEPKS3_S8_PKT1_PKT2_PT3_PS3_PS5_21rocsparse_index_base_b.private_seg_size, 0
	.set _ZN9rocsparseL22coomvn_segmented_loopsILj256Elf21rocsparse_complex_numIfES2_S2_EEvlT0_NS_24const_host_device_scalarIT4_EEPKS3_S8_PKT1_PKT2_PT3_PS3_PS5_21rocsparse_index_base_b.uses_vcc, 1
	.set _ZN9rocsparseL22coomvn_segmented_loopsILj256Elf21rocsparse_complex_numIfES2_S2_EEvlT0_NS_24const_host_device_scalarIT4_EEPKS3_S8_PKT1_PKT2_PT3_PS3_PS5_21rocsparse_index_base_b.uses_flat_scratch, 0
	.set _ZN9rocsparseL22coomvn_segmented_loopsILj256Elf21rocsparse_complex_numIfES2_S2_EEvlT0_NS_24const_host_device_scalarIT4_EEPKS3_S8_PKT1_PKT2_PT3_PS3_PS5_21rocsparse_index_base_b.has_dyn_sized_stack, 0
	.set _ZN9rocsparseL22coomvn_segmented_loopsILj256Elf21rocsparse_complex_numIfES2_S2_EEvlT0_NS_24const_host_device_scalarIT4_EEPKS3_S8_PKT1_PKT2_PT3_PS3_PS5_21rocsparse_index_base_b.has_recursion, 0
	.set _ZN9rocsparseL22coomvn_segmented_loopsILj256Elf21rocsparse_complex_numIfES2_S2_EEvlT0_NS_24const_host_device_scalarIT4_EEPKS3_S8_PKT1_PKT2_PT3_PS3_PS5_21rocsparse_index_base_b.has_indirect_call, 0
	.section	.AMDGPU.csdata,"",@progbits
; Kernel info:
; codeLenInByte = 2804
; TotalNumSgprs: 52
; NumVgprs: 39
; ScratchSize: 0
; MemoryBound: 1
; FloatMode: 240
; IeeeMode: 1
; LDSByteSize: 4096 bytes/workgroup (compile time only)
; SGPRBlocks: 6
; VGPRBlocks: 9
; NumSGPRsForWavesPerEU: 52
; NumVGPRsForWavesPerEU: 39
; Occupancy: 6
; WaveLimiterHint : 1
; COMPUTE_PGM_RSRC2:SCRATCH_EN: 0
; COMPUTE_PGM_RSRC2:USER_SGPR: 6
; COMPUTE_PGM_RSRC2:TRAP_HANDLER: 0
; COMPUTE_PGM_RSRC2:TGID_X_EN: 1
; COMPUTE_PGM_RSRC2:TGID_Y_EN: 0
; COMPUTE_PGM_RSRC2:TGID_Z_EN: 0
; COMPUTE_PGM_RSRC2:TIDIG_COMP_CNT: 0
	.section	.text._ZN9rocsparseL13coomvt_kernelILj1024Elf21rocsparse_complex_numIfES2_S2_EEv20rocsparse_operation_lNS_24const_host_device_scalarIT4_EEPKT0_S9_PKT1_PKT2_PT3_21rocsparse_index_base_b,"axG",@progbits,_ZN9rocsparseL13coomvt_kernelILj1024Elf21rocsparse_complex_numIfES2_S2_EEv20rocsparse_operation_lNS_24const_host_device_scalarIT4_EEPKT0_S9_PKT1_PKT2_PT3_21rocsparse_index_base_b,comdat
	.globl	_ZN9rocsparseL13coomvt_kernelILj1024Elf21rocsparse_complex_numIfES2_S2_EEv20rocsparse_operation_lNS_24const_host_device_scalarIT4_EEPKT0_S9_PKT1_PKT2_PT3_21rocsparse_index_base_b ; -- Begin function _ZN9rocsparseL13coomvt_kernelILj1024Elf21rocsparse_complex_numIfES2_S2_EEv20rocsparse_operation_lNS_24const_host_device_scalarIT4_EEPKT0_S9_PKT1_PKT2_PT3_21rocsparse_index_base_b
	.p2align	8
	.type	_ZN9rocsparseL13coomvt_kernelILj1024Elf21rocsparse_complex_numIfES2_S2_EEv20rocsparse_operation_lNS_24const_host_device_scalarIT4_EEPKT0_S9_PKT1_PKT2_PT3_21rocsparse_index_base_b,@function
_ZN9rocsparseL13coomvt_kernelILj1024Elf21rocsparse_complex_numIfES2_S2_EEv20rocsparse_operation_lNS_24const_host_device_scalarIT4_EEPKT0_S9_PKT1_PKT2_PT3_21rocsparse_index_base_b: ; @_ZN9rocsparseL13coomvt_kernelILj1024Elf21rocsparse_complex_numIfES2_S2_EEv20rocsparse_operation_lNS_24const_host_device_scalarIT4_EEPKT0_S9_PKT1_PKT2_PT3_21rocsparse_index_base_b
; %bb.0:
	s_load_dwordx2 s[2:3], s[4:5], 0x40
	s_load_dwordx4 s[8:11], s[4:5], 0x8
	s_add_u32 s0, s4, 16
	s_addc_u32 s1, s5, 0
	s_waitcnt lgkmcnt(0)
	s_bitcmp1_b32 s3, 0
	s_cselect_b32 s1, s1, s11
	s_cselect_b32 s0, s0, s10
	v_mov_b32_e32 v1, s0
	v_mov_b32_e32 v2, s1
	flat_load_dwordx2 v[1:2], v[1:2]
	s_waitcnt vmcnt(0) lgkmcnt(0)
	v_cmp_neq_f32_e32 vcc, 0, v1
	v_cmp_neq_f32_e64 s[0:1], 0, v2
	s_or_b64 s[0:1], vcc, s[0:1]
	s_and_saveexec_b64 s[10:11], s[0:1]
	s_cbranch_execz .LBB81_6
; %bb.1:
	s_load_dword s0, s[4:5], 0x54
	v_mov_b32_e32 v4, 0
	s_waitcnt lgkmcnt(0)
	s_and_b32 s0, s0, 0xffff
	s_mul_i32 s6, s6, s0
	v_add_u32_e32 v3, s6, v0
	v_cmp_gt_i64_e32 vcc, s[8:9], v[3:4]
	s_and_b64 exec, exec, vcc
	s_cbranch_execz .LBB81_6
; %bb.2:
	s_load_dwordx8 s[8:15], s[4:5], 0x18
	v_lshlrev_b64 v[5:6], 3, v[3:4]
	v_lshlrev_b64 v[3:4], 2, v[3:4]
	s_load_dwordx2 s[0:1], s[4:5], 0x38
	s_waitcnt lgkmcnt(0)
	v_mov_b32_e32 v0, s9
	v_add_co_u32_e32 v7, vcc, s8, v5
	v_addc_co_u32_e32 v8, vcc, v0, v6, vcc
	global_load_dwordx2 v[7:8], v[7:8], off
	v_mov_b32_e32 v0, s11
	v_add_co_u32_e32 v5, vcc, s10, v5
	v_addc_co_u32_e32 v6, vcc, v0, v6, vcc
	global_load_dwordx2 v[5:6], v[5:6], off
	v_mov_b32_e32 v0, s13
	v_add_co_u32_e32 v3, vcc, s12, v3
	v_addc_co_u32_e32 v4, vcc, v0, v4, vcc
	global_load_dword v11, v[3:4], off
	v_mov_b32_e32 v10, s15
	v_mov_b32_e32 v9, s1
	v_mul_f32_e32 v0, 0x80000000, v2
	s_waitcnt vmcnt(2)
	v_subrev_co_u32_e32 v3, vcc, s2, v7
	v_subbrev_co_u32_e32 v4, vcc, 0, v8, vcc
	v_lshlrev_b64 v[3:4], 3, v[3:4]
	s_waitcnt vmcnt(1)
	v_subrev_co_u32_e32 v5, vcc, s2, v5
	v_subbrev_co_u32_e32 v6, vcc, 0, v6, vcc
	v_lshlrev_b64 v[7:8], 3, v[5:6]
	v_add_co_u32_e32 v3, vcc, s14, v3
	v_addc_co_u32_e32 v4, vcc, v10, v4, vcc
	global_load_dwordx2 v[5:6], v[3:4], off
	v_add_co_u32_e32 v3, vcc, s0, v7
	v_addc_co_u32_e32 v4, vcc, v9, v8, vcc
	global_load_dword v8, v[3:4], off
	v_mul_f32_e32 v9, 0, v1
	s_waitcnt vmcnt(2)
	v_fmac_f32_e32 v9, v2, v11
	v_fmac_f32_e32 v0, v1, v11
	s_mov_b64 s[0:1], 0
	s_waitcnt vmcnt(1)
	v_mul_f32_e64 v1, v6, -v9
	v_fmac_f32_e32 v1, v0, v5
.LBB81_3:                               ; =>This Inner Loop Header: Depth=1
	s_waitcnt vmcnt(0)
	v_add_f32_e32 v7, v8, v1
	global_atomic_cmpswap v2, v[3:4], v[7:8], off glc
	s_waitcnt vmcnt(0)
	v_cmp_eq_u32_e32 vcc, v2, v8
	s_or_b64 s[0:1], vcc, s[0:1]
	v_mov_b32_e32 v8, v2
	s_andn2_b64 exec, exec, s[0:1]
	s_cbranch_execnz .LBB81_3
; %bb.4:
	s_or_b64 exec, exec, s[0:1]
	global_load_dword v1, v[3:4], off offset:4
	v_mul_f32_e32 v2, v0, v6
	v_fmac_f32_e32 v2, v9, v5
	s_mov_b64 s[0:1], 0
.LBB81_5:                               ; =>This Inner Loop Header: Depth=1
	s_waitcnt vmcnt(0)
	v_add_f32_e32 v0, v1, v2
	global_atomic_cmpswap v0, v[3:4], v[0:1], off offset:4 glc
	s_waitcnt vmcnt(0)
	v_cmp_eq_u32_e32 vcc, v0, v1
	s_or_b64 s[0:1], vcc, s[0:1]
	v_mov_b32_e32 v1, v0
	s_andn2_b64 exec, exec, s[0:1]
	s_cbranch_execnz .LBB81_5
.LBB81_6:
	s_endpgm
	.section	.rodata,"a",@progbits
	.p2align	6, 0x0
	.amdhsa_kernel _ZN9rocsparseL13coomvt_kernelILj1024Elf21rocsparse_complex_numIfES2_S2_EEv20rocsparse_operation_lNS_24const_host_device_scalarIT4_EEPKT0_S9_PKT1_PKT2_PT3_21rocsparse_index_base_b
		.amdhsa_group_segment_fixed_size 0
		.amdhsa_private_segment_fixed_size 0
		.amdhsa_kernarg_size 328
		.amdhsa_user_sgpr_count 6
		.amdhsa_user_sgpr_private_segment_buffer 1
		.amdhsa_user_sgpr_dispatch_ptr 0
		.amdhsa_user_sgpr_queue_ptr 0
		.amdhsa_user_sgpr_kernarg_segment_ptr 1
		.amdhsa_user_sgpr_dispatch_id 0
		.amdhsa_user_sgpr_flat_scratch_init 0
		.amdhsa_user_sgpr_private_segment_size 0
		.amdhsa_uses_dynamic_stack 0
		.amdhsa_system_sgpr_private_segment_wavefront_offset 0
		.amdhsa_system_sgpr_workgroup_id_x 1
		.amdhsa_system_sgpr_workgroup_id_y 0
		.amdhsa_system_sgpr_workgroup_id_z 0
		.amdhsa_system_sgpr_workgroup_info 0
		.amdhsa_system_vgpr_workitem_id 0
		.amdhsa_next_free_vgpr 12
		.amdhsa_next_free_sgpr 16
		.amdhsa_reserve_vcc 1
		.amdhsa_reserve_flat_scratch 0
		.amdhsa_float_round_mode_32 0
		.amdhsa_float_round_mode_16_64 0
		.amdhsa_float_denorm_mode_32 3
		.amdhsa_float_denorm_mode_16_64 3
		.amdhsa_dx10_clamp 1
		.amdhsa_ieee_mode 1
		.amdhsa_fp16_overflow 0
		.amdhsa_exception_fp_ieee_invalid_op 0
		.amdhsa_exception_fp_denorm_src 0
		.amdhsa_exception_fp_ieee_div_zero 0
		.amdhsa_exception_fp_ieee_overflow 0
		.amdhsa_exception_fp_ieee_underflow 0
		.amdhsa_exception_fp_ieee_inexact 0
		.amdhsa_exception_int_div_zero 0
	.end_amdhsa_kernel
	.section	.text._ZN9rocsparseL13coomvt_kernelILj1024Elf21rocsparse_complex_numIfES2_S2_EEv20rocsparse_operation_lNS_24const_host_device_scalarIT4_EEPKT0_S9_PKT1_PKT2_PT3_21rocsparse_index_base_b,"axG",@progbits,_ZN9rocsparseL13coomvt_kernelILj1024Elf21rocsparse_complex_numIfES2_S2_EEv20rocsparse_operation_lNS_24const_host_device_scalarIT4_EEPKT0_S9_PKT1_PKT2_PT3_21rocsparse_index_base_b,comdat
.Lfunc_end81:
	.size	_ZN9rocsparseL13coomvt_kernelILj1024Elf21rocsparse_complex_numIfES2_S2_EEv20rocsparse_operation_lNS_24const_host_device_scalarIT4_EEPKT0_S9_PKT1_PKT2_PT3_21rocsparse_index_base_b, .Lfunc_end81-_ZN9rocsparseL13coomvt_kernelILj1024Elf21rocsparse_complex_numIfES2_S2_EEv20rocsparse_operation_lNS_24const_host_device_scalarIT4_EEPKT0_S9_PKT1_PKT2_PT3_21rocsparse_index_base_b
                                        ; -- End function
	.set _ZN9rocsparseL13coomvt_kernelILj1024Elf21rocsparse_complex_numIfES2_S2_EEv20rocsparse_operation_lNS_24const_host_device_scalarIT4_EEPKT0_S9_PKT1_PKT2_PT3_21rocsparse_index_base_b.num_vgpr, 12
	.set _ZN9rocsparseL13coomvt_kernelILj1024Elf21rocsparse_complex_numIfES2_S2_EEv20rocsparse_operation_lNS_24const_host_device_scalarIT4_EEPKT0_S9_PKT1_PKT2_PT3_21rocsparse_index_base_b.num_agpr, 0
	.set _ZN9rocsparseL13coomvt_kernelILj1024Elf21rocsparse_complex_numIfES2_S2_EEv20rocsparse_operation_lNS_24const_host_device_scalarIT4_EEPKT0_S9_PKT1_PKT2_PT3_21rocsparse_index_base_b.numbered_sgpr, 16
	.set _ZN9rocsparseL13coomvt_kernelILj1024Elf21rocsparse_complex_numIfES2_S2_EEv20rocsparse_operation_lNS_24const_host_device_scalarIT4_EEPKT0_S9_PKT1_PKT2_PT3_21rocsparse_index_base_b.num_named_barrier, 0
	.set _ZN9rocsparseL13coomvt_kernelILj1024Elf21rocsparse_complex_numIfES2_S2_EEv20rocsparse_operation_lNS_24const_host_device_scalarIT4_EEPKT0_S9_PKT1_PKT2_PT3_21rocsparse_index_base_b.private_seg_size, 0
	.set _ZN9rocsparseL13coomvt_kernelILj1024Elf21rocsparse_complex_numIfES2_S2_EEv20rocsparse_operation_lNS_24const_host_device_scalarIT4_EEPKT0_S9_PKT1_PKT2_PT3_21rocsparse_index_base_b.uses_vcc, 1
	.set _ZN9rocsparseL13coomvt_kernelILj1024Elf21rocsparse_complex_numIfES2_S2_EEv20rocsparse_operation_lNS_24const_host_device_scalarIT4_EEPKT0_S9_PKT1_PKT2_PT3_21rocsparse_index_base_b.uses_flat_scratch, 0
	.set _ZN9rocsparseL13coomvt_kernelILj1024Elf21rocsparse_complex_numIfES2_S2_EEv20rocsparse_operation_lNS_24const_host_device_scalarIT4_EEPKT0_S9_PKT1_PKT2_PT3_21rocsparse_index_base_b.has_dyn_sized_stack, 0
	.set _ZN9rocsparseL13coomvt_kernelILj1024Elf21rocsparse_complex_numIfES2_S2_EEv20rocsparse_operation_lNS_24const_host_device_scalarIT4_EEPKT0_S9_PKT1_PKT2_PT3_21rocsparse_index_base_b.has_recursion, 0
	.set _ZN9rocsparseL13coomvt_kernelILj1024Elf21rocsparse_complex_numIfES2_S2_EEv20rocsparse_operation_lNS_24const_host_device_scalarIT4_EEPKT0_S9_PKT1_PKT2_PT3_21rocsparse_index_base_b.has_indirect_call, 0
	.section	.AMDGPU.csdata,"",@progbits
; Kernel info:
; codeLenInByte = 456
; TotalNumSgprs: 20
; NumVgprs: 12
; ScratchSize: 0
; MemoryBound: 0
; FloatMode: 240
; IeeeMode: 1
; LDSByteSize: 0 bytes/workgroup (compile time only)
; SGPRBlocks: 2
; VGPRBlocks: 2
; NumSGPRsForWavesPerEU: 20
; NumVGPRsForWavesPerEU: 12
; Occupancy: 10
; WaveLimiterHint : 1
; COMPUTE_PGM_RSRC2:SCRATCH_EN: 0
; COMPUTE_PGM_RSRC2:USER_SGPR: 6
; COMPUTE_PGM_RSRC2:TRAP_HANDLER: 0
; COMPUTE_PGM_RSRC2:TGID_X_EN: 1
; COMPUTE_PGM_RSRC2:TGID_Y_EN: 0
; COMPUTE_PGM_RSRC2:TGID_Z_EN: 0
; COMPUTE_PGM_RSRC2:TIDIG_COMP_CNT: 0
	.section	.text._ZN9rocsparseL19coomvn_atomic_loopsILj256ELj1Elf21rocsparse_complex_numIfES2_S2_EEvlNS_24const_host_device_scalarIT5_EEPKT1_S8_PKT2_PKT3_PT4_21rocsparse_index_base_b,"axG",@progbits,_ZN9rocsparseL19coomvn_atomic_loopsILj256ELj1Elf21rocsparse_complex_numIfES2_S2_EEvlNS_24const_host_device_scalarIT5_EEPKT1_S8_PKT2_PKT3_PT4_21rocsparse_index_base_b,comdat
	.globl	_ZN9rocsparseL19coomvn_atomic_loopsILj256ELj1Elf21rocsparse_complex_numIfES2_S2_EEvlNS_24const_host_device_scalarIT5_EEPKT1_S8_PKT2_PKT3_PT4_21rocsparse_index_base_b ; -- Begin function _ZN9rocsparseL19coomvn_atomic_loopsILj256ELj1Elf21rocsparse_complex_numIfES2_S2_EEvlNS_24const_host_device_scalarIT5_EEPKT1_S8_PKT2_PKT3_PT4_21rocsparse_index_base_b
	.p2align	8
	.type	_ZN9rocsparseL19coomvn_atomic_loopsILj256ELj1Elf21rocsparse_complex_numIfES2_S2_EEvlNS_24const_host_device_scalarIT5_EEPKT1_S8_PKT2_PKT3_PT4_21rocsparse_index_base_b,@function
_ZN9rocsparseL19coomvn_atomic_loopsILj256ELj1Elf21rocsparse_complex_numIfES2_S2_EEvlNS_24const_host_device_scalarIT5_EEPKT1_S8_PKT2_PKT3_PT4_21rocsparse_index_base_b: ; @_ZN9rocsparseL19coomvn_atomic_loopsILj256ELj1Elf21rocsparse_complex_numIfES2_S2_EEvlNS_24const_host_device_scalarIT5_EEPKT1_S8_PKT2_PKT3_PT4_21rocsparse_index_base_b
; %bb.0:
	s_load_dwordx2 s[2:3], s[4:5], 0x38
	s_load_dwordx4 s[8:11], s[4:5], 0x0
	s_or_b32 s0, s4, 8
	s_waitcnt lgkmcnt(0)
	s_bitcmp1_b32 s3, 0
	s_cselect_b32 s1, s5, s11
	s_cselect_b32 s0, s0, s10
	v_mov_b32_e32 v1, s0
	v_mov_b32_e32 v2, s1
	flat_load_dwordx2 v[1:2], v[1:2]
	s_waitcnt vmcnt(0) lgkmcnt(0)
	v_cmp_neq_f32_e32 vcc, 0, v1
	v_cmp_neq_f32_e64 s[0:1], 0, v2
	s_or_b64 s[0:1], vcc, s[0:1]
	s_and_saveexec_b64 s[10:11], s[0:1]
	s_cbranch_execz .LBB82_46
; %bb.1:
	v_lshl_or_b32 v7, s6, 8, v0
	v_mov_b32_e32 v8, 0
	v_cmp_gt_i64_e32 vcc, s[8:9], v[7:8]
	v_mov_b32_e32 v5, -1
	v_mov_b32_e32 v6, -1
	v_mov_b32_e32 v3, v8
	v_mov_b32_e32 v4, v8
	s_and_saveexec_b64 s[0:1], vcc
	s_cbranch_execz .LBB82_3
; %bb.2:
	s_load_dwordx8 s[8:15], s[4:5], 0x10
	v_lshlrev_b64 v[3:4], 3, v[7:8]
	v_lshlrev_b64 v[7:8], 2, v[7:8]
	s_waitcnt lgkmcnt(0)
	v_mov_b32_e32 v6, s11
	v_add_co_u32_e32 v5, vcc, s10, v3
	v_addc_co_u32_e32 v6, vcc, v6, v4, vcc
	global_load_dwordx2 v[5:6], v[5:6], off glc slc
	v_mov_b32_e32 v9, s9
	v_add_co_u32_e32 v3, vcc, s8, v3
	v_addc_co_u32_e32 v4, vcc, v9, v4, vcc
	v_mov_b32_e32 v10, s13
	v_add_co_u32_e32 v7, vcc, s12, v7
	v_addc_co_u32_e32 v8, vcc, v10, v8, vcc
	v_mov_b32_e32 v11, s15
	global_load_dwordx2 v[3:4], v[3:4], off glc slc
	s_waitcnt vmcnt(1)
	v_subrev_co_u32_e32 v5, vcc, s2, v5
	v_subbrev_co_u32_e32 v6, vcc, 0, v6, vcc
	v_lshlrev_b64 v[5:6], 3, v[5:6]
	v_add_co_u32_e32 v5, vcc, s14, v5
	v_addc_co_u32_e32 v6, vcc, v11, v6, vcc
	global_load_dwordx2 v[9:10], v[5:6], off
	global_load_dword v11, v[7:8], off glc slc
	s_waitcnt vmcnt(2)
	v_subrev_co_u32_e32 v5, vcc, s2, v3
	v_subbrev_co_u32_e32 v6, vcc, 0, v4, vcc
	s_waitcnt vmcnt(1)
	v_mul_f32_e32 v3, 0x80000000, v10
	s_waitcnt vmcnt(0)
	v_mul_f32_e32 v4, v11, v10
	v_fmac_f32_e32 v3, v11, v9
	v_fmac_f32_e32 v4, 0, v9
.LBB82_3:
	s_or_b64 exec, exec, s[0:1]
	v_lshlrev_b32_e32 v7, 3, v0
	v_or_b32_e32 v8, 0x800, v7
	v_cmp_ne_u32_e32 vcc, 0, v0
	ds_write2st64_b64 v7, v[5:6], v[3:4] offset1:4
	s_waitcnt lgkmcnt(0)
	s_barrier
	s_and_saveexec_b64 s[0:1], vcc
	s_cbranch_execz .LBB82_7
; %bb.4:
	v_add_u32_e32 v9, -8, v7
	ds_read_b64 v[9:10], v9
	s_waitcnt lgkmcnt(0)
	v_cmp_eq_u64_e32 vcc, v[5:6], v[9:10]
	s_and_saveexec_b64 s[2:3], vcc
	s_cbranch_execz .LBB82_6
; %bb.5:
	v_add_u32_e32 v9, -8, v8
	ds_read_b64 v[9:10], v9
	s_waitcnt lgkmcnt(0)
	v_add_f32_e32 v3, v3, v9
	v_add_f32_e32 v4, v4, v10
.LBB82_6:
	s_or_b64 exec, exec, s[2:3]
.LBB82_7:
	s_or_b64 exec, exec, s[0:1]
	v_cmp_lt_u32_e32 vcc, 1, v0
	s_barrier
	ds_write_b64 v8, v[3:4]
	s_waitcnt lgkmcnt(0)
	s_barrier
	s_and_saveexec_b64 s[0:1], vcc
	s_cbranch_execz .LBB82_11
; %bb.8:
	v_add_u32_e32 v9, -16, v7
	ds_read_b64 v[9:10], v9
	s_waitcnt lgkmcnt(0)
	v_cmp_eq_u64_e32 vcc, v[5:6], v[9:10]
	s_and_saveexec_b64 s[2:3], vcc
	s_cbranch_execz .LBB82_10
; %bb.9:
	v_add_u32_e32 v9, -16, v8
	ds_read_b64 v[9:10], v9
	s_waitcnt lgkmcnt(0)
	v_add_f32_e32 v3, v3, v9
	v_add_f32_e32 v4, v4, v10
.LBB82_10:
	s_or_b64 exec, exec, s[2:3]
.LBB82_11:
	s_or_b64 exec, exec, s[0:1]
	v_cmp_lt_u32_e32 vcc, 3, v0
	s_barrier
	ds_write_b64 v8, v[3:4]
	s_waitcnt lgkmcnt(0)
	s_barrier
	s_and_saveexec_b64 s[0:1], vcc
	s_cbranch_execz .LBB82_15
; %bb.12:
	v_subrev_u32_e32 v9, 32, v7
	ds_read_b64 v[9:10], v9
	s_waitcnt lgkmcnt(0)
	v_cmp_eq_u64_e32 vcc, v[5:6], v[9:10]
	s_and_saveexec_b64 s[2:3], vcc
	s_cbranch_execz .LBB82_14
; %bb.13:
	v_subrev_u32_e32 v9, 32, v8
	ds_read_b64 v[9:10], v9
	s_waitcnt lgkmcnt(0)
	v_add_f32_e32 v3, v3, v9
	v_add_f32_e32 v4, v4, v10
.LBB82_14:
	s_or_b64 exec, exec, s[2:3]
.LBB82_15:
	s_or_b64 exec, exec, s[0:1]
	v_cmp_lt_u32_e32 vcc, 7, v0
	s_barrier
	ds_write_b64 v8, v[3:4]
	s_waitcnt lgkmcnt(0)
	s_barrier
	s_and_saveexec_b64 s[0:1], vcc
	s_cbranch_execz .LBB82_19
; %bb.16:
	v_subrev_u32_e32 v9, 64, v7
	ds_read_b64 v[9:10], v9
	s_waitcnt lgkmcnt(0)
	v_cmp_eq_u64_e32 vcc, v[5:6], v[9:10]
	s_and_saveexec_b64 s[2:3], vcc
	s_cbranch_execz .LBB82_18
; %bb.17:
	v_subrev_u32_e32 v9, 64, v8
	ds_read_b64 v[9:10], v9
	s_waitcnt lgkmcnt(0)
	v_add_f32_e32 v3, v3, v9
	v_add_f32_e32 v4, v4, v10
.LBB82_18:
	s_or_b64 exec, exec, s[2:3]
.LBB82_19:
	s_or_b64 exec, exec, s[0:1]
	v_cmp_lt_u32_e32 vcc, 15, v0
	s_barrier
	ds_write_b64 v8, v[3:4]
	s_waitcnt lgkmcnt(0)
	s_barrier
	s_and_saveexec_b64 s[0:1], vcc
	s_cbranch_execz .LBB82_23
; %bb.20:
	v_add_u32_e32 v9, 0xffffff80, v7
	ds_read_b64 v[9:10], v9
	s_waitcnt lgkmcnt(0)
	v_cmp_eq_u64_e32 vcc, v[5:6], v[9:10]
	s_and_saveexec_b64 s[2:3], vcc
	s_cbranch_execz .LBB82_22
; %bb.21:
	v_add_u32_e32 v9, 0xffffff80, v8
	ds_read_b64 v[9:10], v9
	s_waitcnt lgkmcnt(0)
	v_add_f32_e32 v3, v3, v9
	v_add_f32_e32 v4, v4, v10
.LBB82_22:
	s_or_b64 exec, exec, s[2:3]
.LBB82_23:
	s_or_b64 exec, exec, s[0:1]
	v_cmp_lt_u32_e32 vcc, 31, v0
	s_barrier
	ds_write_b64 v8, v[3:4]
	s_waitcnt lgkmcnt(0)
	s_barrier
	s_and_saveexec_b64 s[0:1], vcc
	s_cbranch_execz .LBB82_27
; %bb.24:
	v_add_u32_e32 v9, 0xffffff00, v7
	ds_read_b64 v[9:10], v9
	s_waitcnt lgkmcnt(0)
	v_cmp_eq_u64_e32 vcc, v[5:6], v[9:10]
	s_and_saveexec_b64 s[2:3], vcc
	s_cbranch_execz .LBB82_26
; %bb.25:
	v_add_u32_e32 v9, 0xffffff00, v8
	ds_read_b64 v[9:10], v9
	s_waitcnt lgkmcnt(0)
	v_add_f32_e32 v3, v3, v9
	v_add_f32_e32 v4, v4, v10
.LBB82_26:
	s_or_b64 exec, exec, s[2:3]
.LBB82_27:
	;; [unrolled: 24-line block ×3, first 2 shown]
	s_or_b64 exec, exec, s[0:1]
	s_load_dwordx2 s[2:3], s[4:5], 0x30
	s_movk_i32 s0, 0x7f
	v_cmp_lt_u32_e32 vcc, s0, v0
	s_waitcnt lgkmcnt(0)
	s_barrier
	ds_write_b64 v8, v[3:4]
	s_waitcnt lgkmcnt(0)
	s_barrier
	s_and_saveexec_b64 s[0:1], vcc
	s_cbranch_execz .LBB82_35
; %bb.32:
	v_add_u32_e32 v9, 0xfffffc00, v7
	ds_read_b64 v[9:10], v9
	s_waitcnt lgkmcnt(0)
	v_cmp_eq_u64_e32 vcc, v[5:6], v[9:10]
	s_and_saveexec_b64 s[4:5], vcc
	s_cbranch_execz .LBB82_34
; %bb.33:
	v_add_u32_e32 v9, 0xfffffc00, v8
	ds_read_b64 v[9:10], v9
	s_waitcnt lgkmcnt(0)
	v_add_f32_e32 v3, v3, v9
	v_add_f32_e32 v4, v4, v10
.LBB82_34:
	s_or_b64 exec, exec, s[4:5]
.LBB82_35:
	s_or_b64 exec, exec, s[0:1]
	s_movk_i32 s6, 0xff
	v_cmp_gt_u32_e32 vcc, s6, v0
	s_barrier
	ds_write_b64 v8, v[3:4]
	s_waitcnt lgkmcnt(0)
	s_barrier
	s_and_saveexec_b64 s[4:5], vcc
	s_cbranch_execz .LBB82_41
; %bb.36:
	ds_read_b64 v[7:8], v7 offset:8
	v_cmp_lt_i64_e64 s[0:1], -1, v[5:6]
	s_waitcnt lgkmcnt(0)
	v_cmp_ne_u64_e32 vcc, v[5:6], v[7:8]
	s_and_b64 s[0:1], s[0:1], vcc
	s_and_b64 exec, exec, s[0:1]
	s_cbranch_execz .LBB82_41
; %bb.37:
	v_lshlrev_b64 v[7:8], 3, v[5:6]
	v_mov_b32_e32 v9, s3
	v_add_co_u32_e32 v7, vcc, s2, v7
	v_addc_co_u32_e32 v8, vcc, v9, v8, vcc
	global_load_dword v10, v[7:8], off
	v_mul_f32_e64 v11, v4, -v2
	v_fmac_f32_e32 v11, v1, v3
	s_mov_b64 s[0:1], 0
.LBB82_38:                              ; =>This Inner Loop Header: Depth=1
	s_waitcnt vmcnt(0)
	v_add_f32_e32 v9, v10, v11
	global_atomic_cmpswap v9, v[7:8], v[9:10], off glc
	s_waitcnt vmcnt(0)
	v_cmp_eq_u32_e32 vcc, v9, v10
	s_or_b64 s[0:1], vcc, s[0:1]
	v_mov_b32_e32 v10, v9
	s_andn2_b64 exec, exec, s[0:1]
	s_cbranch_execnz .LBB82_38
; %bb.39:
	s_or_b64 exec, exec, s[0:1]
	global_load_dword v10, v[7:8], off offset:4
	v_mul_f32_e32 v11, v1, v4
	v_fmac_f32_e32 v11, v2, v3
	s_mov_b64 s[0:1], 0
.LBB82_40:                              ; =>This Inner Loop Header: Depth=1
	s_waitcnt vmcnt(0)
	v_add_f32_e32 v9, v10, v11
	global_atomic_cmpswap v9, v[7:8], v[9:10], off offset:4 glc
	s_waitcnt vmcnt(0)
	v_cmp_eq_u32_e32 vcc, v9, v10
	s_or_b64 s[0:1], vcc, s[0:1]
	v_mov_b32_e32 v10, v9
	s_andn2_b64 exec, exec, s[0:1]
	s_cbranch_execnz .LBB82_40
.LBB82_41:
	s_or_b64 exec, exec, s[4:5]
	v_cmp_lt_i64_e32 vcc, -1, v[5:6]
	v_cmp_eq_u32_e64 s[0:1], s6, v0
	s_and_b64 s[0:1], s[0:1], vcc
	s_and_b64 exec, exec, s[0:1]
	s_cbranch_execz .LBB82_46
; %bb.42:
	v_lshlrev_b64 v[5:6], 3, v[5:6]
	v_mov_b32_e32 v0, s3
	v_add_co_u32_e32 v5, vcc, s2, v5
	v_addc_co_u32_e32 v6, vcc, v0, v6, vcc
	global_load_dword v8, v[5:6], off
	v_mul_f32_e64 v0, v4, -v2
	v_fmac_f32_e32 v0, v1, v3
	s_mov_b64 s[0:1], 0
.LBB82_43:                              ; =>This Inner Loop Header: Depth=1
	s_waitcnt vmcnt(0)
	v_add_f32_e32 v7, v8, v0
	global_atomic_cmpswap v7, v[5:6], v[7:8], off glc
	s_waitcnt vmcnt(0)
	v_cmp_eq_u32_e32 vcc, v7, v8
	s_or_b64 s[0:1], vcc, s[0:1]
	v_mov_b32_e32 v8, v7
	s_andn2_b64 exec, exec, s[0:1]
	s_cbranch_execnz .LBB82_43
; %bb.44:
	s_or_b64 exec, exec, s[0:1]
	global_load_dword v8, v[5:6], off offset:4
	v_mul_f32_e32 v0, v1, v4
	v_fmac_f32_e32 v0, v2, v3
	s_mov_b64 s[0:1], 0
.LBB82_45:                              ; =>This Inner Loop Header: Depth=1
	s_waitcnt vmcnt(0)
	v_add_f32_e32 v7, v8, v0
	global_atomic_cmpswap v1, v[5:6], v[7:8], off offset:4 glc
	s_waitcnt vmcnt(0)
	v_cmp_eq_u32_e32 vcc, v1, v8
	s_or_b64 s[0:1], vcc, s[0:1]
	v_mov_b32_e32 v8, v1
	s_andn2_b64 exec, exec, s[0:1]
	s_cbranch_execnz .LBB82_45
.LBB82_46:
	s_endpgm
	.section	.rodata,"a",@progbits
	.p2align	6, 0x0
	.amdhsa_kernel _ZN9rocsparseL19coomvn_atomic_loopsILj256ELj1Elf21rocsparse_complex_numIfES2_S2_EEvlNS_24const_host_device_scalarIT5_EEPKT1_S8_PKT2_PKT3_PT4_21rocsparse_index_base_b
		.amdhsa_group_segment_fixed_size 4096
		.amdhsa_private_segment_fixed_size 0
		.amdhsa_kernarg_size 64
		.amdhsa_user_sgpr_count 6
		.amdhsa_user_sgpr_private_segment_buffer 1
		.amdhsa_user_sgpr_dispatch_ptr 0
		.amdhsa_user_sgpr_queue_ptr 0
		.amdhsa_user_sgpr_kernarg_segment_ptr 1
		.amdhsa_user_sgpr_dispatch_id 0
		.amdhsa_user_sgpr_flat_scratch_init 0
		.amdhsa_user_sgpr_private_segment_size 0
		.amdhsa_uses_dynamic_stack 0
		.amdhsa_system_sgpr_private_segment_wavefront_offset 0
		.amdhsa_system_sgpr_workgroup_id_x 1
		.amdhsa_system_sgpr_workgroup_id_y 0
		.amdhsa_system_sgpr_workgroup_id_z 0
		.amdhsa_system_sgpr_workgroup_info 0
		.amdhsa_system_vgpr_workitem_id 0
		.amdhsa_next_free_vgpr 12
		.amdhsa_next_free_sgpr 16
		.amdhsa_reserve_vcc 1
		.amdhsa_reserve_flat_scratch 0
		.amdhsa_float_round_mode_32 0
		.amdhsa_float_round_mode_16_64 0
		.amdhsa_float_denorm_mode_32 3
		.amdhsa_float_denorm_mode_16_64 3
		.amdhsa_dx10_clamp 1
		.amdhsa_ieee_mode 1
		.amdhsa_fp16_overflow 0
		.amdhsa_exception_fp_ieee_invalid_op 0
		.amdhsa_exception_fp_denorm_src 0
		.amdhsa_exception_fp_ieee_div_zero 0
		.amdhsa_exception_fp_ieee_overflow 0
		.amdhsa_exception_fp_ieee_underflow 0
		.amdhsa_exception_fp_ieee_inexact 0
		.amdhsa_exception_int_div_zero 0
	.end_amdhsa_kernel
	.section	.text._ZN9rocsparseL19coomvn_atomic_loopsILj256ELj1Elf21rocsparse_complex_numIfES2_S2_EEvlNS_24const_host_device_scalarIT5_EEPKT1_S8_PKT2_PKT3_PT4_21rocsparse_index_base_b,"axG",@progbits,_ZN9rocsparseL19coomvn_atomic_loopsILj256ELj1Elf21rocsparse_complex_numIfES2_S2_EEvlNS_24const_host_device_scalarIT5_EEPKT1_S8_PKT2_PKT3_PT4_21rocsparse_index_base_b,comdat
.Lfunc_end82:
	.size	_ZN9rocsparseL19coomvn_atomic_loopsILj256ELj1Elf21rocsparse_complex_numIfES2_S2_EEvlNS_24const_host_device_scalarIT5_EEPKT1_S8_PKT2_PKT3_PT4_21rocsparse_index_base_b, .Lfunc_end82-_ZN9rocsparseL19coomvn_atomic_loopsILj256ELj1Elf21rocsparse_complex_numIfES2_S2_EEvlNS_24const_host_device_scalarIT5_EEPKT1_S8_PKT2_PKT3_PT4_21rocsparse_index_base_b
                                        ; -- End function
	.set _ZN9rocsparseL19coomvn_atomic_loopsILj256ELj1Elf21rocsparse_complex_numIfES2_S2_EEvlNS_24const_host_device_scalarIT5_EEPKT1_S8_PKT2_PKT3_PT4_21rocsparse_index_base_b.num_vgpr, 12
	.set _ZN9rocsparseL19coomvn_atomic_loopsILj256ELj1Elf21rocsparse_complex_numIfES2_S2_EEvlNS_24const_host_device_scalarIT5_EEPKT1_S8_PKT2_PKT3_PT4_21rocsparse_index_base_b.num_agpr, 0
	.set _ZN9rocsparseL19coomvn_atomic_loopsILj256ELj1Elf21rocsparse_complex_numIfES2_S2_EEvlNS_24const_host_device_scalarIT5_EEPKT1_S8_PKT2_PKT3_PT4_21rocsparse_index_base_b.numbered_sgpr, 16
	.set _ZN9rocsparseL19coomvn_atomic_loopsILj256ELj1Elf21rocsparse_complex_numIfES2_S2_EEvlNS_24const_host_device_scalarIT5_EEPKT1_S8_PKT2_PKT3_PT4_21rocsparse_index_base_b.num_named_barrier, 0
	.set _ZN9rocsparseL19coomvn_atomic_loopsILj256ELj1Elf21rocsparse_complex_numIfES2_S2_EEvlNS_24const_host_device_scalarIT5_EEPKT1_S8_PKT2_PKT3_PT4_21rocsparse_index_base_b.private_seg_size, 0
	.set _ZN9rocsparseL19coomvn_atomic_loopsILj256ELj1Elf21rocsparse_complex_numIfES2_S2_EEvlNS_24const_host_device_scalarIT5_EEPKT1_S8_PKT2_PKT3_PT4_21rocsparse_index_base_b.uses_vcc, 1
	.set _ZN9rocsparseL19coomvn_atomic_loopsILj256ELj1Elf21rocsparse_complex_numIfES2_S2_EEvlNS_24const_host_device_scalarIT5_EEPKT1_S8_PKT2_PKT3_PT4_21rocsparse_index_base_b.uses_flat_scratch, 0
	.set _ZN9rocsparseL19coomvn_atomic_loopsILj256ELj1Elf21rocsparse_complex_numIfES2_S2_EEvlNS_24const_host_device_scalarIT5_EEPKT1_S8_PKT2_PKT3_PT4_21rocsparse_index_base_b.has_dyn_sized_stack, 0
	.set _ZN9rocsparseL19coomvn_atomic_loopsILj256ELj1Elf21rocsparse_complex_numIfES2_S2_EEvlNS_24const_host_device_scalarIT5_EEPKT1_S8_PKT2_PKT3_PT4_21rocsparse_index_base_b.has_recursion, 0
	.set _ZN9rocsparseL19coomvn_atomic_loopsILj256ELj1Elf21rocsparse_complex_numIfES2_S2_EEvlNS_24const_host_device_scalarIT5_EEPKT1_S8_PKT2_PKT3_PT4_21rocsparse_index_base_b.has_indirect_call, 0
	.section	.AMDGPU.csdata,"",@progbits
; Kernel info:
; codeLenInByte = 1484
; TotalNumSgprs: 20
; NumVgprs: 12
; ScratchSize: 0
; MemoryBound: 0
; FloatMode: 240
; IeeeMode: 1
; LDSByteSize: 4096 bytes/workgroup (compile time only)
; SGPRBlocks: 2
; VGPRBlocks: 2
; NumSGPRsForWavesPerEU: 20
; NumVGPRsForWavesPerEU: 12
; Occupancy: 10
; WaveLimiterHint : 1
; COMPUTE_PGM_RSRC2:SCRATCH_EN: 0
; COMPUTE_PGM_RSRC2:USER_SGPR: 6
; COMPUTE_PGM_RSRC2:TRAP_HANDLER: 0
; COMPUTE_PGM_RSRC2:TGID_X_EN: 1
; COMPUTE_PGM_RSRC2:TGID_Y_EN: 0
; COMPUTE_PGM_RSRC2:TGID_Z_EN: 0
; COMPUTE_PGM_RSRC2:TIDIG_COMP_CNT: 0
	.section	.text._ZN9rocsparseL19coomvn_atomic_loopsILj256ELj2Elf21rocsparse_complex_numIfES2_S2_EEvlNS_24const_host_device_scalarIT5_EEPKT1_S8_PKT2_PKT3_PT4_21rocsparse_index_base_b,"axG",@progbits,_ZN9rocsparseL19coomvn_atomic_loopsILj256ELj2Elf21rocsparse_complex_numIfES2_S2_EEvlNS_24const_host_device_scalarIT5_EEPKT1_S8_PKT2_PKT3_PT4_21rocsparse_index_base_b,comdat
	.globl	_ZN9rocsparseL19coomvn_atomic_loopsILj256ELj2Elf21rocsparse_complex_numIfES2_S2_EEvlNS_24const_host_device_scalarIT5_EEPKT1_S8_PKT2_PKT3_PT4_21rocsparse_index_base_b ; -- Begin function _ZN9rocsparseL19coomvn_atomic_loopsILj256ELj2Elf21rocsparse_complex_numIfES2_S2_EEvlNS_24const_host_device_scalarIT5_EEPKT1_S8_PKT2_PKT3_PT4_21rocsparse_index_base_b
	.p2align	8
	.type	_ZN9rocsparseL19coomvn_atomic_loopsILj256ELj2Elf21rocsparse_complex_numIfES2_S2_EEvlNS_24const_host_device_scalarIT5_EEPKT1_S8_PKT2_PKT3_PT4_21rocsparse_index_base_b,@function
_ZN9rocsparseL19coomvn_atomic_loopsILj256ELj2Elf21rocsparse_complex_numIfES2_S2_EEvlNS_24const_host_device_scalarIT5_EEPKT1_S8_PKT2_PKT3_PT4_21rocsparse_index_base_b: ; @_ZN9rocsparseL19coomvn_atomic_loopsILj256ELj2Elf21rocsparse_complex_numIfES2_S2_EEvlNS_24const_host_device_scalarIT5_EEPKT1_S8_PKT2_PKT3_PT4_21rocsparse_index_base_b
; %bb.0:
	s_load_dwordx2 s[34:35], s[4:5], 0x38
	s_load_dwordx4 s[36:39], s[4:5], 0x0
	s_or_b32 s0, s4, 8
	s_waitcnt lgkmcnt(0)
	s_bitcmp1_b32 s35, 0
	s_cselect_b32 s1, s5, s39
	s_cselect_b32 s0, s0, s38
	v_mov_b32_e32 v1, s0
	v_mov_b32_e32 v2, s1
	flat_load_dwordx2 v[1:2], v[1:2]
	s_waitcnt vmcnt(0) lgkmcnt(0)
	v_cmp_neq_f32_e32 vcc, 0, v1
	v_cmp_neq_f32_e64 s[0:1], 0, v2
	s_or_b64 s[0:1], vcc, s[0:1]
	s_and_saveexec_b64 s[2:3], s[0:1]
	s_cbranch_execz .LBB83_105
; %bb.1:
	s_load_dwordx8 s[24:31], s[4:5], 0x10
	v_lshl_or_b32 v3, s6, 9, v0
	v_mov_b32_e32 v4, 0
	v_cmp_gt_i64_e32 vcc, s[36:37], v[3:4]
	v_mov_b32_e32 v11, -1
	v_lshlrev_b64 v[9:10], 3, v[3:4]
	v_lshlrev_b64 v[7:8], 2, v[3:4]
	v_mov_b32_e32 v12, -1
	v_mov_b32_e32 v5, v4
	v_mov_b32_e32 v6, v4
	s_and_saveexec_b64 s[0:1], vcc
	s_cbranch_execz .LBB83_3
; %bb.2:
	s_waitcnt lgkmcnt(0)
	v_mov_b32_e32 v5, s27
	v_add_co_u32_e32 v4, vcc, s26, v9
	v_addc_co_u32_e32 v5, vcc, v5, v10, vcc
	global_load_dwordx2 v[4:5], v[4:5], off glc slc
	v_mov_b32_e32 v6, s25
	v_add_co_u32_e32 v11, vcc, s24, v9
	v_addc_co_u32_e32 v12, vcc, v6, v10, vcc
	v_mov_b32_e32 v14, s29
	v_add_co_u32_e32 v13, vcc, s28, v7
	v_addc_co_u32_e32 v14, vcc, v14, v8, vcc
	v_mov_b32_e32 v15, s31
	global_load_dwordx2 v[11:12], v[11:12], off glc slc
	s_waitcnt vmcnt(1)
	v_subrev_co_u32_e32 v4, vcc, s34, v4
	v_subbrev_co_u32_e32 v5, vcc, 0, v5, vcc
	v_lshlrev_b64 v[4:5], 3, v[4:5]
	v_add_co_u32_e32 v4, vcc, s30, v4
	v_addc_co_u32_e32 v5, vcc, v15, v5, vcc
	global_load_dwordx2 v[15:16], v[4:5], off
	global_load_dword v17, v[13:14], off glc slc
	s_waitcnt vmcnt(2)
	v_subrev_co_u32_e32 v11, vcc, s34, v11
	v_subbrev_co_u32_e32 v12, vcc, 0, v12, vcc
	s_waitcnt vmcnt(1)
	v_mul_f32_e32 v5, 0x80000000, v16
	s_waitcnt vmcnt(0)
	v_mul_f32_e32 v6, v17, v16
	v_fmac_f32_e32 v5, v17, v15
	v_fmac_f32_e32 v6, 0, v15
.LBB83_3:
	s_or_b64 exec, exec, s[0:1]
	v_lshlrev_b32_e32 v15, 3, v0
	v_or_b32_e32 v16, 0x800, v15
	v_cmp_eq_u32_e64 s[18:19], 0, v0
	v_cmp_ne_u32_e64 s[0:1], 0, v0
	v_add_u32_e32 v17, -8, v15
	ds_write2st64_b64 v15, v[11:12], v[5:6] offset1:4
	s_waitcnt lgkmcnt(0)
	s_barrier
	s_and_saveexec_b64 s[2:3], s[0:1]
	s_cbranch_execz .LBB83_7
; %bb.4:
	ds_read_b64 v[13:14], v17
	s_waitcnt lgkmcnt(0)
	v_cmp_eq_u64_e32 vcc, v[11:12], v[13:14]
	s_and_saveexec_b64 s[6:7], vcc
	s_cbranch_execz .LBB83_6
; %bb.5:
	v_add_u32_e32 v4, -8, v16
	ds_read_b64 v[13:14], v4
	s_waitcnt lgkmcnt(0)
	v_add_f32_e32 v5, v5, v13
	v_add_f32_e32 v6, v6, v14
.LBB83_6:
	s_or_b64 exec, exec, s[6:7]
.LBB83_7:
	s_or_b64 exec, exec, s[2:3]
	v_cmp_lt_u32_e64 s[2:3], 1, v0
	v_add_u32_e32 v18, -16, v15
	s_barrier
	ds_write_b64 v16, v[5:6]
	s_waitcnt lgkmcnt(0)
	s_barrier
	s_and_saveexec_b64 s[6:7], s[2:3]
	s_cbranch_execz .LBB83_11
; %bb.8:
	ds_read_b64 v[13:14], v18
	s_waitcnt lgkmcnt(0)
	v_cmp_eq_u64_e32 vcc, v[11:12], v[13:14]
	s_and_saveexec_b64 s[8:9], vcc
	s_cbranch_execz .LBB83_10
; %bb.9:
	v_add_u32_e32 v4, -16, v16
	ds_read_b64 v[13:14], v4
	s_waitcnt lgkmcnt(0)
	v_add_f32_e32 v5, v5, v13
	v_add_f32_e32 v6, v6, v14
.LBB83_10:
	s_or_b64 exec, exec, s[8:9]
.LBB83_11:
	s_or_b64 exec, exec, s[6:7]
	v_cmp_lt_u32_e64 s[20:21], 3, v0
	v_subrev_u32_e32 v19, 32, v15
	s_barrier
	ds_write_b64 v16, v[5:6]
	s_waitcnt lgkmcnt(0)
	s_barrier
	s_and_saveexec_b64 s[6:7], s[20:21]
	s_cbranch_execz .LBB83_15
; %bb.12:
	ds_read_b64 v[13:14], v19
	s_waitcnt lgkmcnt(0)
	v_cmp_eq_u64_e32 vcc, v[11:12], v[13:14]
	s_and_saveexec_b64 s[8:9], vcc
	s_cbranch_execz .LBB83_14
; %bb.13:
	v_subrev_u32_e32 v4, 32, v16
	ds_read_b64 v[13:14], v4
	s_waitcnt lgkmcnt(0)
	v_add_f32_e32 v5, v5, v13
	v_add_f32_e32 v6, v6, v14
.LBB83_14:
	s_or_b64 exec, exec, s[8:9]
.LBB83_15:
	s_or_b64 exec, exec, s[6:7]
	v_cmp_lt_u32_e64 s[6:7], 7, v0
	v_subrev_u32_e32 v20, 64, v15
	s_barrier
	ds_write_b64 v16, v[5:6]
	s_waitcnt lgkmcnt(0)
	s_barrier
	s_and_saveexec_b64 s[8:9], s[6:7]
	s_cbranch_execz .LBB83_19
; %bb.16:
	ds_read_b64 v[13:14], v20
	s_waitcnt lgkmcnt(0)
	v_cmp_eq_u64_e32 vcc, v[11:12], v[13:14]
	s_and_saveexec_b64 s[10:11], vcc
	s_cbranch_execz .LBB83_18
; %bb.17:
	v_subrev_u32_e32 v4, 64, v16
	ds_read_b64 v[13:14], v4
	s_waitcnt lgkmcnt(0)
	v_add_f32_e32 v5, v5, v13
	v_add_f32_e32 v6, v6, v14
.LBB83_18:
	s_or_b64 exec, exec, s[10:11]
.LBB83_19:
	s_or_b64 exec, exec, s[8:9]
	v_cmp_lt_u32_e64 s[8:9], 15, v0
	s_barrier
	ds_write_b64 v16, v[5:6]
	s_waitcnt lgkmcnt(0)
	s_barrier
	s_and_saveexec_b64 s[10:11], s[8:9]
	s_cbranch_execz .LBB83_23
; %bb.20:
	v_add_u32_e32 v4, 0xffffff80, v15
	ds_read_b64 v[13:14], v4
	s_waitcnt lgkmcnt(0)
	v_cmp_eq_u64_e32 vcc, v[11:12], v[13:14]
	s_and_saveexec_b64 s[12:13], vcc
	s_cbranch_execz .LBB83_22
; %bb.21:
	v_add_u32_e32 v4, 0xffffff80, v16
	ds_read_b64 v[13:14], v4
	s_waitcnt lgkmcnt(0)
	v_add_f32_e32 v5, v5, v13
	v_add_f32_e32 v6, v6, v14
.LBB83_22:
	s_or_b64 exec, exec, s[12:13]
.LBB83_23:
	s_or_b64 exec, exec, s[10:11]
	v_cmp_lt_u32_e64 s[10:11], 31, v0
	s_barrier
	ds_write_b64 v16, v[5:6]
	s_waitcnt lgkmcnt(0)
	s_barrier
	s_and_saveexec_b64 s[12:13], s[10:11]
	s_cbranch_execz .LBB83_27
; %bb.24:
	v_add_u32_e32 v4, 0xffffff00, v15
	ds_read_b64 v[13:14], v4
	s_waitcnt lgkmcnt(0)
	v_cmp_eq_u64_e32 vcc, v[11:12], v[13:14]
	s_and_saveexec_b64 s[14:15], vcc
	s_cbranch_execz .LBB83_26
; %bb.25:
	v_add_u32_e32 v4, 0xffffff00, v16
	ds_read_b64 v[13:14], v4
	s_waitcnt lgkmcnt(0)
	v_add_f32_e32 v5, v5, v13
	v_add_f32_e32 v6, v6, v14
.LBB83_26:
	s_or_b64 exec, exec, s[14:15]
.LBB83_27:
	s_or_b64 exec, exec, s[12:13]
	v_cmp_lt_u32_e64 s[12:13], 63, v0
	s_barrier
	ds_write_b64 v16, v[5:6]
	s_waitcnt lgkmcnt(0)
	s_barrier
	s_and_saveexec_b64 s[14:15], s[12:13]
	s_cbranch_execz .LBB83_31
; %bb.28:
	v_add_u32_e32 v4, 0xfffffe00, v15
	ds_read_b64 v[13:14], v4
	s_waitcnt lgkmcnt(0)
	v_cmp_eq_u64_e32 vcc, v[11:12], v[13:14]
	s_and_saveexec_b64 s[16:17], vcc
	s_cbranch_execz .LBB83_30
; %bb.29:
	v_add_u32_e32 v4, 0xfffffe00, v16
	ds_read_b64 v[13:14], v4
	s_waitcnt lgkmcnt(0)
	v_add_f32_e32 v5, v5, v13
	v_add_f32_e32 v6, v6, v14
.LBB83_30:
	s_or_b64 exec, exec, s[16:17]
.LBB83_31:
	s_or_b64 exec, exec, s[14:15]
	s_load_dwordx2 s[22:23], s[4:5], 0x30
	s_movk_i32 s4, 0x7f
	v_cmp_lt_u32_e64 s[14:15], s4, v0
	s_waitcnt lgkmcnt(0)
	s_barrier
	ds_write_b64 v16, v[5:6]
	s_waitcnt lgkmcnt(0)
	s_barrier
	s_and_saveexec_b64 s[4:5], s[14:15]
	s_cbranch_execz .LBB83_35
; %bb.32:
	v_add_u32_e32 v4, 0xfffffc00, v15
	ds_read_b64 v[13:14], v4
	s_waitcnt lgkmcnt(0)
	v_cmp_eq_u64_e32 vcc, v[11:12], v[13:14]
	s_and_saveexec_b64 s[16:17], vcc
	s_cbranch_execz .LBB83_34
; %bb.33:
	v_add_u32_e32 v4, 0xfffffc00, v16
	ds_read_b64 v[13:14], v4
	s_waitcnt lgkmcnt(0)
	v_add_f32_e32 v5, v5, v13
	v_add_f32_e32 v6, v6, v14
.LBB83_34:
	s_or_b64 exec, exec, s[16:17]
.LBB83_35:
	s_or_b64 exec, exec, s[4:5]
	s_movk_i32 s4, 0xff
	v_cmp_gt_u32_e64 s[16:17], s4, v0
	s_barrier
	ds_write_b64 v16, v[5:6]
	s_waitcnt lgkmcnt(0)
	s_barrier
	s_and_saveexec_b64 s[38:39], s[16:17]
	s_cbranch_execz .LBB83_41
; %bb.36:
	ds_read_b64 v[13:14], v15 offset:8
	v_cmp_lt_i64_e64 s[4:5], -1, v[11:12]
	s_waitcnt lgkmcnt(0)
	v_cmp_ne_u64_e32 vcc, v[11:12], v[13:14]
	s_and_b64 s[4:5], s[4:5], vcc
	s_and_b64 exec, exec, s[4:5]
	s_cbranch_execz .LBB83_41
; %bb.37:
	v_lshlrev_b64 v[11:12], 3, v[11:12]
	v_mov_b32_e32 v4, s23
	v_add_co_u32_e32 v11, vcc, s22, v11
	v_addc_co_u32_e32 v12, vcc, v4, v12, vcc
	global_load_dword v14, v[11:12], off
	v_mul_f32_e64 v4, v6, -v2
	v_fmac_f32_e32 v4, v1, v5
	s_mov_b64 s[4:5], 0
.LBB83_38:                              ; =>This Inner Loop Header: Depth=1
	s_waitcnt vmcnt(0)
	v_add_f32_e32 v13, v14, v4
	global_atomic_cmpswap v13, v[11:12], v[13:14], off glc
	s_waitcnt vmcnt(0)
	v_cmp_eq_u32_e32 vcc, v13, v14
	s_or_b64 s[4:5], vcc, s[4:5]
	v_mov_b32_e32 v14, v13
	s_andn2_b64 exec, exec, s[4:5]
	s_cbranch_execnz .LBB83_38
; %bb.39:
	s_or_b64 exec, exec, s[4:5]
	global_load_dword v14, v[11:12], off offset:4
	v_mul_f32_e32 v4, v1, v6
	v_fmac_f32_e32 v4, v2, v5
	s_mov_b64 s[4:5], 0
.LBB83_40:                              ; =>This Inner Loop Header: Depth=1
	s_waitcnt vmcnt(0)
	v_add_f32_e32 v13, v14, v4
	global_atomic_cmpswap v5, v[11:12], v[13:14], off offset:4 glc
	s_waitcnt vmcnt(0)
	v_cmp_eq_u32_e32 vcc, v5, v14
	s_or_b64 s[4:5], vcc, s[4:5]
	v_mov_b32_e32 v14, v5
	s_andn2_b64 exec, exec, s[4:5]
	s_cbranch_execnz .LBB83_40
.LBB83_41:
	s_or_b64 exec, exec, s[38:39]
	v_add_co_u32_e32 v3, vcc, 0x100, v3
	v_addc_co_u32_e64 v4, s[4:5], 0, 0, vcc
	v_cmp_gt_i64_e32 vcc, s[36:37], v[3:4]
	v_mov_b32_e32 v5, -1
	v_mov_b32_e32 v6, -1
	v_mov_b32_e32 v3, 0
	v_mov_b32_e32 v4, 0
	s_and_saveexec_b64 s[4:5], vcc
	s_cbranch_execz .LBB83_43
; %bb.42:
	v_mov_b32_e32 v4, s27
	v_add_co_u32_e32 v3, vcc, s26, v9
	v_addc_co_u32_e32 v4, vcc, v4, v10, vcc
	global_load_dwordx2 v[3:4], v[3:4], off offset:2048 glc slc
	v_mov_b32_e32 v6, s25
	v_add_co_u32_e32 v5, vcc, s24, v9
	v_addc_co_u32_e32 v6, vcc, v6, v10, vcc
	v_mov_b32_e32 v11, s29
	v_add_co_u32_e32 v7, vcc, s28, v7
	v_addc_co_u32_e32 v8, vcc, v11, v8, vcc
	v_mov_b32_e32 v12, s31
	global_load_dwordx2 v[5:6], v[5:6], off offset:2048 glc slc
	s_waitcnt vmcnt(1)
	v_subrev_co_u32_e32 v3, vcc, s34, v3
	v_subbrev_co_u32_e32 v4, vcc, 0, v4, vcc
	v_lshlrev_b64 v[3:4], 3, v[3:4]
	v_add_co_u32_e32 v3, vcc, s30, v3
	v_addc_co_u32_e32 v4, vcc, v12, v4, vcc
	global_load_dwordx2 v[9:10], v[3:4], off
	global_load_dword v11, v[7:8], off offset:1024 glc slc
	s_waitcnt vmcnt(2)
	v_subrev_co_u32_e32 v5, vcc, s34, v5
	v_subbrev_co_u32_e32 v6, vcc, 0, v6, vcc
	s_waitcnt vmcnt(1)
	v_mul_f32_e32 v3, 0x80000000, v10
	s_waitcnt vmcnt(0)
	v_mul_f32_e32 v4, v11, v10
	v_fmac_f32_e32 v3, v11, v9
	v_fmac_f32_e32 v4, 0, v9
.LBB83_43:
	s_or_b64 exec, exec, s[4:5]
	s_and_saveexec_b64 s[4:5], s[18:19]
	s_cbranch_execz .LBB83_62
; %bb.44:
	v_mov_b32_e32 v7, 0
	ds_read_b64 v[7:8], v7 offset:2040
	s_waitcnt lgkmcnt(0)
	v_cmp_ne_u64_e32 vcc, v[5:6], v[7:8]
	s_and_saveexec_b64 s[18:19], vcc
	s_xor_b64 s[18:19], exec, s[18:19]
	s_cbranch_execz .LBB83_59
; %bb.45:
	v_cmp_gt_i64_e32 vcc, 0, v[7:8]
	s_cbranch_vccnz .LBB83_59
; %bb.46:
	v_mov_b32_e32 v9, 0
	ds_read_b64 v[9:10], v9 offset:4088
	s_mov_b64 s[24:25], exec
	v_bfrev_b32_e32 v13, 1
	s_waitcnt lgkmcnt(0)
	v_mul_f32_e64 v11, v10, -v2
	v_fmac_f32_e32 v11, v1, v9
.LBB83_47:                              ; =>This Inner Loop Header: Depth=1
	s_ff1_i32_b64 s26, s[24:25]
	v_readlane_b32 s28, v11, s26
	s_lshl_b64 s[26:27], 1, s26
	s_andn2_b64 s[24:25], s[24:25], s[26:27]
	s_cmp_lg_u64 s[24:25], 0
	v_add_f32_e32 v13, s28, v13
	s_cbranch_scc1 .LBB83_47
; %bb.48:
	v_lshlrev_b64 v[7:8], 3, v[7:8]
	v_mov_b32_e32 v11, s23
	v_add_co_u32_e32 v7, vcc, s22, v7
	v_addc_co_u32_e32 v8, vcc, v11, v8, vcc
	v_mbcnt_lo_u32_b32 v11, exec_lo, 0
	v_mbcnt_hi_u32_b32 v11, exec_hi, v11
	v_cmp_eq_u32_e32 vcc, 0, v11
	s_and_saveexec_b64 s[24:25], vcc
	s_xor_b64 s[24:25], exec, s[24:25]
	s_cbranch_execz .LBB83_52
; %bb.49:
	global_load_dword v12, v[7:8], off
	s_mov_b64 s[26:27], 0
.LBB83_50:                              ; =>This Inner Loop Header: Depth=1
	s_waitcnt vmcnt(0)
	v_add_f32_e32 v11, v12, v13
	global_atomic_cmpswap v11, v[7:8], v[11:12], off glc
	s_waitcnt vmcnt(0)
	v_cmp_eq_u32_e32 vcc, v11, v12
	s_or_b64 s[26:27], vcc, s[26:27]
	v_mov_b32_e32 v12, v11
	s_andn2_b64 exec, exec, s[26:27]
	s_cbranch_execnz .LBB83_50
; %bb.51:
	s_or_b64 exec, exec, s[26:27]
.LBB83_52:
	s_or_b64 exec, exec, s[24:25]
	v_mul_f32_e32 v10, v1, v10
	s_mov_b64 s[24:25], exec
	v_fmac_f32_e32 v10, v2, v9
	v_bfrev_b32_e32 v11, 1
.LBB83_53:                              ; =>This Inner Loop Header: Depth=1
	s_ff1_i32_b64 s26, s[24:25]
	v_readlane_b32 s28, v10, s26
	s_lshl_b64 s[26:27], 1, s26
	s_andn2_b64 s[24:25], s[24:25], s[26:27]
	s_cmp_lg_u64 s[24:25], 0
	v_add_f32_e32 v11, s28, v11
	s_cbranch_scc1 .LBB83_53
; %bb.54:
	v_mbcnt_lo_u32_b32 v9, exec_lo, 0
	v_mbcnt_hi_u32_b32 v9, exec_hi, v9
	v_cmp_eq_u32_e32 vcc, 0, v9
	s_and_saveexec_b64 s[24:25], vcc
	s_xor_b64 s[24:25], exec, s[24:25]
	s_cbranch_execz .LBB83_58
; %bb.55:
	global_load_dword v10, v[7:8], off offset:4
	s_mov_b64 s[26:27], 0
.LBB83_56:                              ; =>This Inner Loop Header: Depth=1
	s_waitcnt vmcnt(0)
	v_add_f32_e32 v9, v10, v11
	global_atomic_cmpswap v9, v[7:8], v[9:10], off offset:4 glc
	s_waitcnt vmcnt(0)
	v_cmp_eq_u32_e32 vcc, v9, v10
	s_or_b64 s[26:27], vcc, s[26:27]
	v_mov_b32_e32 v10, v9
	s_andn2_b64 exec, exec, s[26:27]
	s_cbranch_execnz .LBB83_56
; %bb.57:
	s_or_b64 exec, exec, s[26:27]
.LBB83_58:
	s_or_b64 exec, exec, s[24:25]
.LBB83_59:
	s_andn2_saveexec_b64 s[18:19], s[18:19]
	s_cbranch_execz .LBB83_61
; %bb.60:
	v_mov_b32_e32 v7, 0
	ds_read_b64 v[7:8], v7 offset:4088
	s_waitcnt lgkmcnt(0)
	v_add_f32_e32 v3, v3, v7
	v_add_f32_e32 v4, v4, v8
.LBB83_61:
	s_or_b64 exec, exec, s[18:19]
.LBB83_62:
	s_or_b64 exec, exec, s[4:5]
	s_barrier
	ds_write_b64 v15, v[5:6]
	ds_write_b64 v16, v[3:4]
	s_waitcnt lgkmcnt(0)
	s_barrier
	s_and_saveexec_b64 s[4:5], s[0:1]
	s_cbranch_execz .LBB83_66
; %bb.63:
	ds_read_b64 v[7:8], v17
	s_waitcnt lgkmcnt(0)
	v_cmp_eq_u64_e32 vcc, v[5:6], v[7:8]
	s_and_saveexec_b64 s[0:1], vcc
	s_cbranch_execz .LBB83_65
; %bb.64:
	v_add_u32_e32 v7, -8, v16
	ds_read_b64 v[7:8], v7
	s_waitcnt lgkmcnt(0)
	v_add_f32_e32 v3, v3, v7
	v_add_f32_e32 v4, v4, v8
.LBB83_65:
	s_or_b64 exec, exec, s[0:1]
.LBB83_66:
	s_or_b64 exec, exec, s[4:5]
	s_barrier
	ds_write_b64 v16, v[3:4]
	s_waitcnt lgkmcnt(0)
	s_barrier
	s_and_saveexec_b64 s[0:1], s[2:3]
	s_cbranch_execz .LBB83_70
; %bb.67:
	ds_read_b64 v[7:8], v18
	s_waitcnt lgkmcnt(0)
	v_cmp_eq_u64_e32 vcc, v[5:6], v[7:8]
	s_and_saveexec_b64 s[2:3], vcc
	s_cbranch_execz .LBB83_69
; %bb.68:
	v_add_u32_e32 v7, -16, v16
	ds_read_b64 v[7:8], v7
	s_waitcnt lgkmcnt(0)
	v_add_f32_e32 v3, v3, v7
	v_add_f32_e32 v4, v4, v8
.LBB83_69:
	s_or_b64 exec, exec, s[2:3]
.LBB83_70:
	s_or_b64 exec, exec, s[0:1]
	s_barrier
	ds_write_b64 v16, v[3:4]
	s_waitcnt lgkmcnt(0)
	s_barrier
	s_and_saveexec_b64 s[0:1], s[20:21]
	s_cbranch_execz .LBB83_74
; %bb.71:
	ds_read_b64 v[7:8], v19
	s_waitcnt lgkmcnt(0)
	v_cmp_eq_u64_e32 vcc, v[5:6], v[7:8]
	s_and_saveexec_b64 s[2:3], vcc
	s_cbranch_execz .LBB83_73
; %bb.72:
	v_subrev_u32_e32 v7, 32, v16
	ds_read_b64 v[7:8], v7
	s_waitcnt lgkmcnt(0)
	v_add_f32_e32 v3, v3, v7
	v_add_f32_e32 v4, v4, v8
.LBB83_73:
	s_or_b64 exec, exec, s[2:3]
.LBB83_74:
	s_or_b64 exec, exec, s[0:1]
	s_barrier
	ds_write_b64 v16, v[3:4]
	s_waitcnt lgkmcnt(0)
	s_barrier
	s_and_saveexec_b64 s[0:1], s[6:7]
	s_cbranch_execz .LBB83_78
; %bb.75:
	ds_read_b64 v[7:8], v20
	s_waitcnt lgkmcnt(0)
	v_cmp_eq_u64_e32 vcc, v[5:6], v[7:8]
	s_and_saveexec_b64 s[2:3], vcc
	s_cbranch_execz .LBB83_77
; %bb.76:
	v_subrev_u32_e32 v7, 64, v16
	ds_read_b64 v[7:8], v7
	s_waitcnt lgkmcnt(0)
	v_add_f32_e32 v3, v3, v7
	v_add_f32_e32 v4, v4, v8
.LBB83_77:
	s_or_b64 exec, exec, s[2:3]
.LBB83_78:
	s_or_b64 exec, exec, s[0:1]
	s_barrier
	ds_write_b64 v16, v[3:4]
	s_waitcnt lgkmcnt(0)
	s_barrier
	s_and_saveexec_b64 s[0:1], s[8:9]
	s_cbranch_execz .LBB83_82
; %bb.79:
	v_add_u32_e32 v7, 0xffffff80, v15
	ds_read_b64 v[7:8], v7
	s_waitcnt lgkmcnt(0)
	v_cmp_eq_u64_e32 vcc, v[5:6], v[7:8]
	s_and_saveexec_b64 s[2:3], vcc
	s_cbranch_execz .LBB83_81
; %bb.80:
	v_add_u32_e32 v7, 0xffffff80, v16
	ds_read_b64 v[7:8], v7
	s_waitcnt lgkmcnt(0)
	v_add_f32_e32 v3, v3, v7
	v_add_f32_e32 v4, v4, v8
.LBB83_81:
	s_or_b64 exec, exec, s[2:3]
.LBB83_82:
	s_or_b64 exec, exec, s[0:1]
	s_barrier
	ds_write_b64 v16, v[3:4]
	s_waitcnt lgkmcnt(0)
	s_barrier
	s_and_saveexec_b64 s[0:1], s[10:11]
	s_cbranch_execz .LBB83_86
; %bb.83:
	v_add_u32_e32 v7, 0xffffff00, v15
	ds_read_b64 v[7:8], v7
	s_waitcnt lgkmcnt(0)
	v_cmp_eq_u64_e32 vcc, v[5:6], v[7:8]
	s_and_saveexec_b64 s[2:3], vcc
	s_cbranch_execz .LBB83_85
; %bb.84:
	v_add_u32_e32 v7, 0xffffff00, v16
	ds_read_b64 v[7:8], v7
	s_waitcnt lgkmcnt(0)
	v_add_f32_e32 v3, v3, v7
	v_add_f32_e32 v4, v4, v8
.LBB83_85:
	s_or_b64 exec, exec, s[2:3]
.LBB83_86:
	;; [unrolled: 23-line block ×4, first 2 shown]
	s_or_b64 exec, exec, s[0:1]
	s_barrier
	ds_write_b64 v16, v[3:4]
	s_waitcnt lgkmcnt(0)
	s_barrier
	s_and_saveexec_b64 s[2:3], s[16:17]
	s_cbranch_execz .LBB83_100
; %bb.95:
	ds_read_b64 v[7:8], v15 offset:8
	v_cmp_lt_i64_e64 s[0:1], -1, v[5:6]
	s_waitcnt lgkmcnt(0)
	v_cmp_ne_u64_e32 vcc, v[5:6], v[7:8]
	s_and_b64 s[0:1], s[0:1], vcc
	s_and_b64 exec, exec, s[0:1]
	s_cbranch_execz .LBB83_100
; %bb.96:
	v_lshlrev_b64 v[7:8], 3, v[5:6]
	v_mov_b32_e32 v9, s23
	v_add_co_u32_e32 v7, vcc, s22, v7
	v_addc_co_u32_e32 v8, vcc, v9, v8, vcc
	global_load_dword v10, v[7:8], off
	v_mul_f32_e64 v11, v4, -v2
	v_fmac_f32_e32 v11, v1, v3
	s_mov_b64 s[0:1], 0
.LBB83_97:                              ; =>This Inner Loop Header: Depth=1
	s_waitcnt vmcnt(0)
	v_add_f32_e32 v9, v10, v11
	global_atomic_cmpswap v9, v[7:8], v[9:10], off glc
	s_waitcnt vmcnt(0)
	v_cmp_eq_u32_e32 vcc, v9, v10
	s_or_b64 s[0:1], vcc, s[0:1]
	v_mov_b32_e32 v10, v9
	s_andn2_b64 exec, exec, s[0:1]
	s_cbranch_execnz .LBB83_97
; %bb.98:
	s_or_b64 exec, exec, s[0:1]
	global_load_dword v10, v[7:8], off offset:4
	v_mul_f32_e32 v11, v1, v4
	v_fmac_f32_e32 v11, v2, v3
	s_mov_b64 s[0:1], 0
.LBB83_99:                              ; =>This Inner Loop Header: Depth=1
	s_waitcnt vmcnt(0)
	v_add_f32_e32 v9, v10, v11
	global_atomic_cmpswap v9, v[7:8], v[9:10], off offset:4 glc
	s_waitcnt vmcnt(0)
	v_cmp_eq_u32_e32 vcc, v9, v10
	s_or_b64 s[0:1], vcc, s[0:1]
	v_mov_b32_e32 v10, v9
	s_andn2_b64 exec, exec, s[0:1]
	s_cbranch_execnz .LBB83_99
.LBB83_100:
	s_or_b64 exec, exec, s[2:3]
	s_movk_i32 s0, 0xff
	v_cmp_lt_i64_e32 vcc, -1, v[5:6]
	v_cmp_eq_u32_e64 s[0:1], s0, v0
	s_and_b64 s[0:1], s[0:1], vcc
	s_and_b64 exec, exec, s[0:1]
	s_cbranch_execz .LBB83_105
; %bb.101:
	v_lshlrev_b64 v[5:6], 3, v[5:6]
	v_mov_b32_e32 v0, s23
	v_add_co_u32_e32 v5, vcc, s22, v5
	v_addc_co_u32_e32 v6, vcc, v0, v6, vcc
	global_load_dword v8, v[5:6], off
	v_mul_f32_e64 v0, v4, -v2
	v_fmac_f32_e32 v0, v1, v3
	s_mov_b64 s[0:1], 0
.LBB83_102:                             ; =>This Inner Loop Header: Depth=1
	s_waitcnt vmcnt(0)
	v_add_f32_e32 v7, v8, v0
	global_atomic_cmpswap v7, v[5:6], v[7:8], off glc
	s_waitcnt vmcnt(0)
	v_cmp_eq_u32_e32 vcc, v7, v8
	s_or_b64 s[0:1], vcc, s[0:1]
	v_mov_b32_e32 v8, v7
	s_andn2_b64 exec, exec, s[0:1]
	s_cbranch_execnz .LBB83_102
; %bb.103:
	s_or_b64 exec, exec, s[0:1]
	global_load_dword v8, v[5:6], off offset:4
	v_mul_f32_e32 v0, v1, v4
	v_fmac_f32_e32 v0, v2, v3
	s_mov_b64 s[0:1], 0
.LBB83_104:                             ; =>This Inner Loop Header: Depth=1
	s_waitcnt vmcnt(0)
	v_add_f32_e32 v7, v8, v0
	global_atomic_cmpswap v1, v[5:6], v[7:8], off offset:4 glc
	s_waitcnt vmcnt(0)
	v_cmp_eq_u32_e32 vcc, v1, v8
	s_or_b64 s[0:1], vcc, s[0:1]
	v_mov_b32_e32 v8, v1
	s_andn2_b64 exec, exec, s[0:1]
	s_cbranch_execnz .LBB83_104
.LBB83_105:
	s_endpgm
	.section	.rodata,"a",@progbits
	.p2align	6, 0x0
	.amdhsa_kernel _ZN9rocsparseL19coomvn_atomic_loopsILj256ELj2Elf21rocsparse_complex_numIfES2_S2_EEvlNS_24const_host_device_scalarIT5_EEPKT1_S8_PKT2_PKT3_PT4_21rocsparse_index_base_b
		.amdhsa_group_segment_fixed_size 4096
		.amdhsa_private_segment_fixed_size 0
		.amdhsa_kernarg_size 64
		.amdhsa_user_sgpr_count 6
		.amdhsa_user_sgpr_private_segment_buffer 1
		.amdhsa_user_sgpr_dispatch_ptr 0
		.amdhsa_user_sgpr_queue_ptr 0
		.amdhsa_user_sgpr_kernarg_segment_ptr 1
		.amdhsa_user_sgpr_dispatch_id 0
		.amdhsa_user_sgpr_flat_scratch_init 0
		.amdhsa_user_sgpr_private_segment_size 0
		.amdhsa_uses_dynamic_stack 0
		.amdhsa_system_sgpr_private_segment_wavefront_offset 0
		.amdhsa_system_sgpr_workgroup_id_x 1
		.amdhsa_system_sgpr_workgroup_id_y 0
		.amdhsa_system_sgpr_workgroup_id_z 0
		.amdhsa_system_sgpr_workgroup_info 0
		.amdhsa_system_vgpr_workitem_id 0
		.amdhsa_next_free_vgpr 21
		.amdhsa_next_free_sgpr 40
		.amdhsa_reserve_vcc 1
		.amdhsa_reserve_flat_scratch 0
		.amdhsa_float_round_mode_32 0
		.amdhsa_float_round_mode_16_64 0
		.amdhsa_float_denorm_mode_32 3
		.amdhsa_float_denorm_mode_16_64 3
		.amdhsa_dx10_clamp 1
		.amdhsa_ieee_mode 1
		.amdhsa_fp16_overflow 0
		.amdhsa_exception_fp_ieee_invalid_op 0
		.amdhsa_exception_fp_denorm_src 0
		.amdhsa_exception_fp_ieee_div_zero 0
		.amdhsa_exception_fp_ieee_overflow 0
		.amdhsa_exception_fp_ieee_underflow 0
		.amdhsa_exception_fp_ieee_inexact 0
		.amdhsa_exception_int_div_zero 0
	.end_amdhsa_kernel
	.section	.text._ZN9rocsparseL19coomvn_atomic_loopsILj256ELj2Elf21rocsparse_complex_numIfES2_S2_EEvlNS_24const_host_device_scalarIT5_EEPKT1_S8_PKT2_PKT3_PT4_21rocsparse_index_base_b,"axG",@progbits,_ZN9rocsparseL19coomvn_atomic_loopsILj256ELj2Elf21rocsparse_complex_numIfES2_S2_EEvlNS_24const_host_device_scalarIT5_EEPKT1_S8_PKT2_PKT3_PT4_21rocsparse_index_base_b,comdat
.Lfunc_end83:
	.size	_ZN9rocsparseL19coomvn_atomic_loopsILj256ELj2Elf21rocsparse_complex_numIfES2_S2_EEvlNS_24const_host_device_scalarIT5_EEPKT1_S8_PKT2_PKT3_PT4_21rocsparse_index_base_b, .Lfunc_end83-_ZN9rocsparseL19coomvn_atomic_loopsILj256ELj2Elf21rocsparse_complex_numIfES2_S2_EEvlNS_24const_host_device_scalarIT5_EEPKT1_S8_PKT2_PKT3_PT4_21rocsparse_index_base_b
                                        ; -- End function
	.set _ZN9rocsparseL19coomvn_atomic_loopsILj256ELj2Elf21rocsparse_complex_numIfES2_S2_EEvlNS_24const_host_device_scalarIT5_EEPKT1_S8_PKT2_PKT3_PT4_21rocsparse_index_base_b.num_vgpr, 21
	.set _ZN9rocsparseL19coomvn_atomic_loopsILj256ELj2Elf21rocsparse_complex_numIfES2_S2_EEvlNS_24const_host_device_scalarIT5_EEPKT1_S8_PKT2_PKT3_PT4_21rocsparse_index_base_b.num_agpr, 0
	.set _ZN9rocsparseL19coomvn_atomic_loopsILj256ELj2Elf21rocsparse_complex_numIfES2_S2_EEvlNS_24const_host_device_scalarIT5_EEPKT1_S8_PKT2_PKT3_PT4_21rocsparse_index_base_b.numbered_sgpr, 40
	.set _ZN9rocsparseL19coomvn_atomic_loopsILj256ELj2Elf21rocsparse_complex_numIfES2_S2_EEvlNS_24const_host_device_scalarIT5_EEPKT1_S8_PKT2_PKT3_PT4_21rocsparse_index_base_b.num_named_barrier, 0
	.set _ZN9rocsparseL19coomvn_atomic_loopsILj256ELj2Elf21rocsparse_complex_numIfES2_S2_EEvlNS_24const_host_device_scalarIT5_EEPKT1_S8_PKT2_PKT3_PT4_21rocsparse_index_base_b.private_seg_size, 0
	.set _ZN9rocsparseL19coomvn_atomic_loopsILj256ELj2Elf21rocsparse_complex_numIfES2_S2_EEvlNS_24const_host_device_scalarIT5_EEPKT1_S8_PKT2_PKT3_PT4_21rocsparse_index_base_b.uses_vcc, 1
	.set _ZN9rocsparseL19coomvn_atomic_loopsILj256ELj2Elf21rocsparse_complex_numIfES2_S2_EEvlNS_24const_host_device_scalarIT5_EEPKT1_S8_PKT2_PKT3_PT4_21rocsparse_index_base_b.uses_flat_scratch, 0
	.set _ZN9rocsparseL19coomvn_atomic_loopsILj256ELj2Elf21rocsparse_complex_numIfES2_S2_EEvlNS_24const_host_device_scalarIT5_EEPKT1_S8_PKT2_PKT3_PT4_21rocsparse_index_base_b.has_dyn_sized_stack, 0
	.set _ZN9rocsparseL19coomvn_atomic_loopsILj256ELj2Elf21rocsparse_complex_numIfES2_S2_EEvlNS_24const_host_device_scalarIT5_EEPKT1_S8_PKT2_PKT3_PT4_21rocsparse_index_base_b.has_recursion, 0
	.set _ZN9rocsparseL19coomvn_atomic_loopsILj256ELj2Elf21rocsparse_complex_numIfES2_S2_EEvlNS_24const_host_device_scalarIT5_EEPKT1_S8_PKT2_PKT3_PT4_21rocsparse_index_base_b.has_indirect_call, 0
	.section	.AMDGPU.csdata,"",@progbits
; Kernel info:
; codeLenInByte = 3072
; TotalNumSgprs: 44
; NumVgprs: 21
; ScratchSize: 0
; MemoryBound: 0
; FloatMode: 240
; IeeeMode: 1
; LDSByteSize: 4096 bytes/workgroup (compile time only)
; SGPRBlocks: 5
; VGPRBlocks: 5
; NumSGPRsForWavesPerEU: 44
; NumVGPRsForWavesPerEU: 21
; Occupancy: 10
; WaveLimiterHint : 1
; COMPUTE_PGM_RSRC2:SCRATCH_EN: 0
; COMPUTE_PGM_RSRC2:USER_SGPR: 6
; COMPUTE_PGM_RSRC2:TRAP_HANDLER: 0
; COMPUTE_PGM_RSRC2:TGID_X_EN: 1
; COMPUTE_PGM_RSRC2:TGID_Y_EN: 0
; COMPUTE_PGM_RSRC2:TGID_Z_EN: 0
; COMPUTE_PGM_RSRC2:TIDIG_COMP_CNT: 0
	.section	.text._ZN9rocsparseL22coomvn_segmented_loopsILj256Eid21rocsparse_complex_numIdES2_S2_EEvlT0_NS_24const_host_device_scalarIT4_EEPKS3_S8_PKT1_PKT2_PT3_PS3_PS5_21rocsparse_index_base_b,"axG",@progbits,_ZN9rocsparseL22coomvn_segmented_loopsILj256Eid21rocsparse_complex_numIdES2_S2_EEvlT0_NS_24const_host_device_scalarIT4_EEPKS3_S8_PKT1_PKT2_PT3_PS3_PS5_21rocsparse_index_base_b,comdat
	.globl	_ZN9rocsparseL22coomvn_segmented_loopsILj256Eid21rocsparse_complex_numIdES2_S2_EEvlT0_NS_24const_host_device_scalarIT4_EEPKS3_S8_PKT1_PKT2_PT3_PS3_PS5_21rocsparse_index_base_b ; -- Begin function _ZN9rocsparseL22coomvn_segmented_loopsILj256Eid21rocsparse_complex_numIdES2_S2_EEvlT0_NS_24const_host_device_scalarIT4_EEPKS3_S8_PKT1_PKT2_PT3_PS3_PS5_21rocsparse_index_base_b
	.p2align	8
	.type	_ZN9rocsparseL22coomvn_segmented_loopsILj256Eid21rocsparse_complex_numIdES2_S2_EEvlT0_NS_24const_host_device_scalarIT4_EEPKS3_S8_PKT1_PKT2_PT3_PS3_PS5_21rocsparse_index_base_b,@function
_ZN9rocsparseL22coomvn_segmented_loopsILj256Eid21rocsparse_complex_numIdES2_S2_EEvlT0_NS_24const_host_device_scalarIT4_EEPKS3_S8_PKT1_PKT2_PT3_PS3_PS5_21rocsparse_index_base_b: ; @_ZN9rocsparseL22coomvn_segmented_loopsILj256Eid21rocsparse_complex_numIdES2_S2_EEvlT0_NS_24const_host_device_scalarIT4_EEPKS3_S8_PKT1_PKT2_PT3_PS3_PS5_21rocsparse_index_base_b
; %bb.0:
	s_load_dwordx2 s[28:29], s[4:5], 0x58
	s_load_dwordx2 s[0:1], s[4:5], 0x10
	s_add_u32 s2, s4, 16
	s_addc_u32 s3, s5, 0
	s_waitcnt lgkmcnt(0)
	s_bitcmp1_b32 s29, 0
	s_cselect_b32 s1, s3, s1
	s_cselect_b32 s0, s2, s0
	v_mov_b32_e32 v1, s0
	v_mov_b32_e32 v2, s1
	flat_load_dwordx4 v[1:4], v[1:2]
	s_waitcnt vmcnt(0) lgkmcnt(0)
	v_cmp_neq_f64_e32 vcc, 0, v[1:2]
	v_cmp_neq_f64_e64 s[0:1], 0, v[3:4]
	s_or_b64 s[0:1], vcc, s[0:1]
	s_and_saveexec_b64 s[2:3], s[0:1]
	s_cbranch_execz .LBB84_87
; %bb.1:
	s_load_dword s33, s[4:5], 0x8
	s_load_dwordx2 s[30:31], s[4:5], 0x0
	s_load_dwordx8 s[36:43], s[4:5], 0x20
	v_mov_b32_e32 v5, 0
	v_mov_b32_e32 v18, 0
	s_waitcnt lgkmcnt(0)
	s_mul_i32 s0, s6, s33
	v_lshl_or_b32 v17, s0, 8, v0
	v_mov_b32_e32 v6, 0
	v_cmp_gt_i64_e32 vcc, s[30:31], v[17:18]
	v_lshlrev_b64 v[11:12], 2, v[17:18]
	v_lshlrev_b64 v[13:14], 3, v[17:18]
	v_mov_b32_e32 v8, v6
	v_mov_b32_e32 v9, -1
	v_mov_b32_e32 v7, v5
	s_and_saveexec_b64 s[0:1], vcc
	s_cbranch_execz .LBB84_3
; %bb.2:
	v_mov_b32_e32 v6, s39
	v_add_co_u32_e32 v5, vcc, s38, v11
	v_addc_co_u32_e32 v6, vcc, v6, v12, vcc
	global_load_dword v5, v[5:6], off glc slc
	v_mov_b32_e32 v6, s41
	v_add_co_u32_e32 v15, vcc, s40, v13
	v_addc_co_u32_e32 v16, vcc, v6, v14, vcc
	v_mov_b32_e32 v7, s43
	s_ashr_i32 s29, s28, 31
	s_lshl_b64 s[2:3], s[28:29], 4
	v_mov_b32_e32 v8, s3
	s_waitcnt vmcnt(0)
	v_ashrrev_i32_e32 v6, 31, v5
	v_lshlrev_b64 v[5:6], 4, v[5:6]
	v_add_co_u32_e32 v5, vcc, s42, v5
	v_addc_co_u32_e32 v6, vcc, v7, v6, vcc
	v_subrev_co_u32_e32 v5, vcc, s2, v5
	v_subb_co_u32_e32 v6, vcc, v6, v8, vcc
	global_load_dwordx4 v[7:10], v[5:6], off
	global_load_dwordx2 v[18:19], v[15:16], off glc slc
	v_mov_b32_e32 v6, s37
	v_add_co_u32_e32 v5, vcc, s36, v11
	v_addc_co_u32_e32 v6, vcc, v6, v12, vcc
	global_load_dword v15, v[5:6], off glc slc
	s_mov_b32 s2, 0
	s_brev_b32 s3, 1
	s_waitcnt vmcnt(2)
	v_mul_f64 v[5:6], v[9:10], s[2:3]
	s_waitcnt vmcnt(1)
	v_mul_f64 v[9:10], v[18:19], v[9:10]
	v_fma_f64 v[5:6], v[18:19], v[7:8], v[5:6]
	v_fma_f64 v[7:8], v[7:8], 0, v[9:10]
	s_waitcnt vmcnt(0)
	v_subrev_u32_e32 v9, s28, v15
.LBB84_3:
	s_or_b64 exec, exec, s[0:1]
	v_lshlrev_b32_e32 v10, 2, v0
	v_or_b32_e32 v19, 0x1000, v10
	v_lshlrev_b32_e32 v20, 4, v0
	v_cmp_eq_u32_e64 s[0:1], 0, v0
	v_cmp_ne_u32_e64 s[2:3], 0, v0
	v_add_u32_e32 v21, -4, v19
	ds_write_b32 v10, v9 offset:4096
	ds_write_b128 v20, v[5:8]
	s_waitcnt lgkmcnt(0)
	s_barrier
	s_and_saveexec_b64 s[8:9], s[2:3]
	s_cbranch_execz .LBB84_7
; %bb.4:
	ds_read_b32 v10, v21
	s_waitcnt lgkmcnt(0)
	v_cmp_eq_u32_e32 vcc, v9, v10
	s_and_saveexec_b64 s[10:11], vcc
	s_cbranch_execz .LBB84_6
; %bb.5:
	v_add_u32_e32 v10, -16, v20
	ds_read_b128 v[22:25], v10
	s_waitcnt lgkmcnt(0)
	v_add_f64 v[5:6], v[5:6], v[22:23]
	v_add_f64 v[7:8], v[7:8], v[24:25]
.LBB84_6:
	s_or_b64 exec, exec, s[10:11]
.LBB84_7:
	s_or_b64 exec, exec, s[8:9]
	v_cmp_lt_u32_e64 s[22:23], 1, v0
	v_add_u32_e32 v22, -8, v19
	s_barrier
	ds_write_b128 v20, v[5:8]
	s_waitcnt lgkmcnt(0)
	s_barrier
	s_and_saveexec_b64 s[8:9], s[22:23]
	s_cbranch_execz .LBB84_11
; %bb.8:
	ds_read_b32 v10, v22
	s_waitcnt lgkmcnt(0)
	v_cmp_eq_u32_e32 vcc, v9, v10
	s_and_saveexec_b64 s[10:11], vcc
	s_cbranch_execz .LBB84_10
; %bb.9:
	v_subrev_u32_e32 v10, 32, v20
	ds_read_b128 v[23:26], v10
	s_waitcnt lgkmcnt(0)
	v_add_f64 v[5:6], v[5:6], v[23:24]
	v_add_f64 v[7:8], v[7:8], v[25:26]
.LBB84_10:
	s_or_b64 exec, exec, s[10:11]
.LBB84_11:
	s_or_b64 exec, exec, s[8:9]
	v_cmp_lt_u32_e64 s[8:9], 3, v0
	v_add_u32_e32 v23, -16, v19
	s_barrier
	ds_write_b128 v20, v[5:8]
	s_waitcnt lgkmcnt(0)
	s_barrier
	s_and_saveexec_b64 s[10:11], s[8:9]
	s_cbranch_execz .LBB84_15
; %bb.12:
	ds_read_b32 v10, v23
	s_waitcnt lgkmcnt(0)
	v_cmp_eq_u32_e32 vcc, v9, v10
	s_and_saveexec_b64 s[12:13], vcc
	s_cbranch_execz .LBB84_14
; %bb.13:
	v_subrev_u32_e32 v10, 64, v20
	ds_read_b128 v[24:27], v10
	s_waitcnt lgkmcnt(0)
	v_add_f64 v[5:6], v[5:6], v[24:25]
	v_add_f64 v[7:8], v[7:8], v[26:27]
.LBB84_14:
	s_or_b64 exec, exec, s[12:13]
.LBB84_15:
	s_or_b64 exec, exec, s[10:11]
	v_cmp_lt_u32_e64 s[10:11], 7, v0
	v_subrev_u32_e32 v24, 32, v19
	s_barrier
	ds_write_b128 v20, v[5:8]
	s_waitcnt lgkmcnt(0)
	s_barrier
	s_and_saveexec_b64 s[12:13], s[10:11]
	s_cbranch_execz .LBB84_19
; %bb.16:
	ds_read_b32 v10, v24
	s_waitcnt lgkmcnt(0)
	v_cmp_eq_u32_e32 vcc, v9, v10
	s_and_saveexec_b64 s[14:15], vcc
	s_cbranch_execz .LBB84_18
; %bb.17:
	v_add_u32_e32 v10, 0xffffff80, v20
	ds_read_b128 v[25:28], v10
	s_waitcnt lgkmcnt(0)
	v_add_f64 v[5:6], v[5:6], v[25:26]
	v_add_f64 v[7:8], v[7:8], v[27:28]
.LBB84_18:
	s_or_b64 exec, exec, s[14:15]
.LBB84_19:
	s_or_b64 exec, exec, s[12:13]
	v_cmp_lt_u32_e64 s[12:13], 15, v0
	v_subrev_u32_e32 v25, 64, v19
	s_barrier
	ds_write_b128 v20, v[5:8]
	s_waitcnt lgkmcnt(0)
	s_barrier
	s_and_saveexec_b64 s[14:15], s[12:13]
	s_cbranch_execz .LBB84_23
; %bb.20:
	ds_read_b32 v10, v25
	s_waitcnt lgkmcnt(0)
	v_cmp_eq_u32_e32 vcc, v9, v10
	s_and_saveexec_b64 s[16:17], vcc
	s_cbranch_execz .LBB84_22
; %bb.21:
	v_add_u32_e32 v10, 0xffffff00, v20
	ds_read_b128 v[26:29], v10
	s_waitcnt lgkmcnt(0)
	v_add_f64 v[5:6], v[5:6], v[26:27]
	v_add_f64 v[7:8], v[7:8], v[28:29]
.LBB84_22:
	s_or_b64 exec, exec, s[16:17]
.LBB84_23:
	s_or_b64 exec, exec, s[14:15]
	v_cmp_lt_u32_e64 s[14:15], 31, v0
	s_barrier
	ds_write_b128 v20, v[5:8]
	s_waitcnt lgkmcnt(0)
	s_barrier
	s_and_saveexec_b64 s[16:17], s[14:15]
	s_cbranch_execz .LBB84_27
; %bb.24:
	v_add_u32_e32 v10, 0xffffff80, v19
	ds_read_b32 v10, v10
	s_waitcnt lgkmcnt(0)
	v_cmp_eq_u32_e32 vcc, v9, v10
	s_and_saveexec_b64 s[18:19], vcc
	s_cbranch_execz .LBB84_26
; %bb.25:
	v_add_u32_e32 v10, 0xfffffe00, v20
	ds_read_b128 v[26:29], v10
	s_waitcnt lgkmcnt(0)
	v_add_f64 v[5:6], v[5:6], v[26:27]
	v_add_f64 v[7:8], v[7:8], v[28:29]
.LBB84_26:
	s_or_b64 exec, exec, s[18:19]
.LBB84_27:
	s_or_b64 exec, exec, s[16:17]
	v_cmp_lt_u32_e64 s[16:17], 63, v0
	s_barrier
	ds_write_b128 v20, v[5:8]
	s_waitcnt lgkmcnt(0)
	s_barrier
	s_and_saveexec_b64 s[18:19], s[16:17]
	s_cbranch_execz .LBB84_31
; %bb.28:
	v_add_u32_e32 v10, 0xffffff00, v19
	ds_read_b32 v10, v10
	s_waitcnt lgkmcnt(0)
	v_cmp_eq_u32_e32 vcc, v9, v10
	s_and_saveexec_b64 s[20:21], vcc
	s_cbranch_execz .LBB84_30
; %bb.29:
	v_add_u32_e32 v10, 0xfffffc00, v20
	ds_read_b128 v[26:29], v10
	s_waitcnt lgkmcnt(0)
	v_add_f64 v[5:6], v[5:6], v[26:27]
	v_add_f64 v[7:8], v[7:8], v[28:29]
.LBB84_30:
	s_or_b64 exec, exec, s[20:21]
.LBB84_31:
	s_or_b64 exec, exec, s[18:19]
	s_load_dwordx2 s[34:35], s[4:5], 0x40
	s_movk_i32 s7, 0x7f
	v_cmp_lt_u32_e64 s[18:19], s7, v0
	s_waitcnt lgkmcnt(0)
	s_barrier
	ds_write_b128 v20, v[5:8]
	s_waitcnt lgkmcnt(0)
	s_barrier
	s_and_saveexec_b64 s[20:21], s[18:19]
	s_cbranch_execz .LBB84_35
; %bb.32:
	v_add_u32_e32 v10, 0xfffffe00, v19
	ds_read_b32 v10, v10
	s_waitcnt lgkmcnt(0)
	v_cmp_eq_u32_e32 vcc, v9, v10
	s_and_saveexec_b64 s[24:25], vcc
	s_cbranch_execz .LBB84_34
; %bb.33:
	v_add_u32_e32 v10, 0xfffff800, v20
	ds_read_b128 v[26:29], v10
	s_waitcnt lgkmcnt(0)
	v_add_f64 v[5:6], v[5:6], v[26:27]
	v_add_f64 v[7:8], v[7:8], v[28:29]
.LBB84_34:
	s_or_b64 exec, exec, s[24:25]
.LBB84_35:
	s_or_b64 exec, exec, s[20:21]
	s_movk_i32 s7, 0xff
	v_cmp_gt_u32_e64 s[20:21], s7, v0
	s_barrier
	ds_write_b128 v20, v[5:8]
	s_waitcnt lgkmcnt(0)
	s_barrier
	s_and_saveexec_b64 s[26:27], s[20:21]
	s_cbranch_execz .LBB84_38
; %bb.36:
	ds_read_b32 v10, v19 offset:4
	v_cmp_lt_i32_e64 s[24:25], -1, v9
	s_waitcnt lgkmcnt(0)
	v_cmp_ne_u32_e32 vcc, v9, v10
	s_and_b64 s[24:25], s[24:25], vcc
	s_and_b64 exec, exec, s[24:25]
	s_cbranch_execz .LBB84_38
; %bb.37:
	v_mov_b32_e32 v10, 0
	v_lshlrev_b64 v[15:16], 4, v[9:10]
	v_mov_b32_e32 v10, s35
	v_add_co_u32_e32 v15, vcc, s34, v15
	v_addc_co_u32_e32 v16, vcc, v10, v16, vcc
	global_load_dwordx4 v[26:29], v[15:16], off
	s_waitcnt vmcnt(0)
	v_fma_f64 v[26:27], v[1:2], v[5:6], v[26:27]
	v_fma_f64 v[28:29], v[3:4], v[5:6], v[28:29]
	v_fma_f64 v[26:27], -v[3:4], v[7:8], v[26:27]
	v_fma_f64 v[28:29], v[1:2], v[7:8], v[28:29]
	global_store_dwordx4 v[15:16], v[26:29], off
.LBB84_38:
	s_or_b64 exec, exec, s[26:27]
	s_load_dwordx4 s[24:27], s[4:5], 0x48
	s_cmp_lt_i32 s33, 2
	s_cbranch_scc1 .LBB84_85
; %bb.39:
	s_ashr_i32 s29, s28, 31
	s_lshl_b64 s[4:5], s[28:29], 4
	s_sub_u32 s7, s42, s4
	s_movk_i32 s4, 0x400
	v_add_co_u32_e32 v5, vcc, s4, v11
	v_addc_co_u32_e32 v6, vcc, 0, v12, vcc
	v_mov_b32_e32 v7, s39
	v_add_co_u32_e32 v11, vcc, s38, v5
	v_addc_co_u32_e32 v12, vcc, v7, v6, vcc
	v_mov_b32_e32 v7, s41
	v_add_co_u32_e32 v8, vcc, s40, v13
	v_addc_co_u32_e32 v7, vcc, v7, v14, vcc
	s_movk_i32 s4, 0x800
	v_add_co_u32_e32 v13, vcc, s4, v8
	v_addc_co_u32_e32 v14, vcc, 0, v7, vcc
	v_mov_b32_e32 v7, s37
	v_add_co_u32_e32 v15, vcc, s36, v5
	v_addc_co_u32_e32 v16, vcc, v7, v6, vcc
	s_movk_i32 s4, 0x100
	v_add_co_u32_e32 v17, vcc, s4, v17
	s_mov_b32 s36, 0
	s_subb_u32 s29, s43, s5
	v_add_u32_e32 v26, 0xffffff00, v19
	v_add_u32_e32 v27, 0xfffffc00, v20
	;; [unrolled: 1-line block ×4, first 2 shown]
	v_addc_co_u32_e64 v18, s[4:5], 0, 0, vcc
	s_add_i32 s33, s33, -1
	s_brev_b32 s37, 1
	v_mov_b32_e32 v10, 0
	s_mov_b32 s39, 0
	s_branch .LBB84_41
.LBB84_40:                              ;   in Loop: Header=BB84_41 Depth=1
	s_or_b64 exec, exec, s[40:41]
	v_add_co_u32_e32 v11, vcc, 0x400, v11
	v_addc_co_u32_e32 v12, vcc, 0, v12, vcc
	v_add_co_u32_e32 v13, vcc, 0x800, v13
	v_addc_co_u32_e32 v14, vcc, 0, v14, vcc
	;; [unrolled: 2-line block ×3, first 2 shown]
	v_add_co_u32_e32 v17, vcc, 0x100, v17
	s_add_i32 s33, s33, -1
	s_cmp_eq_u32 s33, 0
	v_addc_co_u32_e32 v18, vcc, 0, v18, vcc
	s_cbranch_scc1 .LBB84_85
.LBB84_41:                              ; =>This Inner Loop Header: Depth=1
	v_cmp_gt_i64_e32 vcc, s[30:31], v[17:18]
	v_mov_b32_e32 v5, 0
	v_mov_b32_e32 v7, 0
	;; [unrolled: 1-line block ×4, first 2 shown]
	v_mov_b32_e32 v9, -1
	s_and_saveexec_b64 s[4:5], vcc
	s_cbranch_execz .LBB84_43
; %bb.42:                               ;   in Loop: Header=BB84_41 Depth=1
	global_load_dword v5, v[11:12], off glc slc
	v_mov_b32_e32 v7, s29
	s_waitcnt vmcnt(0)
	v_ashrrev_i32_e32 v6, 31, v5
	v_lshlrev_b64 v[5:6], 4, v[5:6]
	v_add_co_u32_e32 v5, vcc, s7, v5
	v_addc_co_u32_e32 v6, vcc, v7, v6, vcc
	global_load_dwordx4 v[30:33], v[5:6], off
	global_load_dwordx2 v[7:8], v[13:14], off glc slc
	global_load_dword v9, v[15:16], off glc slc
	s_waitcnt vmcnt(2)
	v_mul_f64 v[5:6], v[32:33], s[36:37]
	s_waitcnt vmcnt(1)
	v_mul_f64 v[32:33], v[7:8], v[32:33]
	s_waitcnt vmcnt(0)
	v_subrev_u32_e32 v9, s28, v9
	v_fma_f64 v[5:6], v[7:8], v[30:31], v[5:6]
	v_fma_f64 v[7:8], v[30:31], 0, v[32:33]
.LBB84_43:                              ;   in Loop: Header=BB84_41 Depth=1
	s_or_b64 exec, exec, s[4:5]
	s_and_saveexec_b64 s[4:5], s[0:1]
	s_cbranch_execz .LBB84_50
; %bb.44:                               ;   in Loop: Header=BB84_41 Depth=1
	ds_read_b32 v30, v10 offset:5116
	s_waitcnt lgkmcnt(0)
	v_readfirstlane_b32 s38, v30
	v_cmp_ne_u32_e32 vcc, v9, v30
	s_and_saveexec_b64 s[40:41], vcc
	s_xor_b64 s[40:41], exec, s[40:41]
	s_cbranch_execz .LBB84_47
; %bb.45:                               ;   in Loop: Header=BB84_41 Depth=1
	s_cmp_lt_i32 s38, 0
	s_cbranch_scc1 .LBB84_47
; %bb.46:                               ;   in Loop: Header=BB84_41 Depth=1
	s_lshl_b64 s[42:43], s[38:39], 4
	s_add_u32 s42, s34, s42
	s_addc_u32 s43, s35, s43
	global_load_dwordx4 v[30:33], v10, s[42:43]
	ds_read_b128 v[34:37], v10 offset:4080
	s_waitcnt vmcnt(0) lgkmcnt(0)
	v_fma_f64 v[30:31], v[1:2], v[34:35], v[30:31]
	v_fma_f64 v[32:33], v[3:4], v[34:35], v[32:33]
	v_fma_f64 v[30:31], -v[3:4], v[36:37], v[30:31]
	v_fma_f64 v[32:33], v[1:2], v[36:37], v[32:33]
	global_store_dwordx4 v10, v[30:33], s[42:43]
.LBB84_47:                              ;   in Loop: Header=BB84_41 Depth=1
	s_andn2_saveexec_b64 s[40:41], s[40:41]
	s_cbranch_execz .LBB84_49
; %bb.48:                               ;   in Loop: Header=BB84_41 Depth=1
	ds_read_b128 v[30:33], v10 offset:4080
	s_waitcnt lgkmcnt(0)
	v_add_f64 v[5:6], v[5:6], v[30:31]
	v_add_f64 v[7:8], v[7:8], v[32:33]
.LBB84_49:                              ;   in Loop: Header=BB84_41 Depth=1
	s_or_b64 exec, exec, s[40:41]
.LBB84_50:                              ;   in Loop: Header=BB84_41 Depth=1
	s_or_b64 exec, exec, s[4:5]
	s_waitcnt vmcnt(0) lgkmcnt(0)
	s_barrier
	ds_write_b32 v19, v9
	ds_write_b128 v20, v[5:8]
	s_waitcnt lgkmcnt(0)
	s_barrier
	s_and_saveexec_b64 s[4:5], s[2:3]
	s_cbranch_execz .LBB84_54
; %bb.51:                               ;   in Loop: Header=BB84_41 Depth=1
	ds_read_b32 v30, v21
	s_waitcnt lgkmcnt(0)
	v_cmp_eq_u32_e32 vcc, v9, v30
	s_and_saveexec_b64 s[40:41], vcc
	s_cbranch_execz .LBB84_53
; %bb.52:                               ;   in Loop: Header=BB84_41 Depth=1
	v_add_u32_e32 v30, -16, v20
	ds_read_b128 v[30:33], v30
	s_waitcnt lgkmcnt(0)
	v_add_f64 v[5:6], v[5:6], v[30:31]
	v_add_f64 v[7:8], v[7:8], v[32:33]
.LBB84_53:                              ;   in Loop: Header=BB84_41 Depth=1
	s_or_b64 exec, exec, s[40:41]
.LBB84_54:                              ;   in Loop: Header=BB84_41 Depth=1
	s_or_b64 exec, exec, s[4:5]
	s_barrier
	ds_write_b128 v20, v[5:8]
	s_waitcnt lgkmcnt(0)
	s_barrier
	s_and_saveexec_b64 s[4:5], s[22:23]
	s_cbranch_execz .LBB84_58
; %bb.55:                               ;   in Loop: Header=BB84_41 Depth=1
	ds_read_b32 v30, v22
	s_waitcnt lgkmcnt(0)
	v_cmp_eq_u32_e32 vcc, v9, v30
	s_and_saveexec_b64 s[40:41], vcc
	s_cbranch_execz .LBB84_57
; %bb.56:                               ;   in Loop: Header=BB84_41 Depth=1
	v_subrev_u32_e32 v30, 32, v20
	ds_read_b128 v[30:33], v30
	s_waitcnt lgkmcnt(0)
	v_add_f64 v[5:6], v[5:6], v[30:31]
	v_add_f64 v[7:8], v[7:8], v[32:33]
.LBB84_57:                              ;   in Loop: Header=BB84_41 Depth=1
	s_or_b64 exec, exec, s[40:41]
.LBB84_58:                              ;   in Loop: Header=BB84_41 Depth=1
	s_or_b64 exec, exec, s[4:5]
	s_barrier
	ds_write_b128 v20, v[5:8]
	s_waitcnt lgkmcnt(0)
	s_barrier
	s_and_saveexec_b64 s[4:5], s[8:9]
	s_cbranch_execz .LBB84_62
; %bb.59:                               ;   in Loop: Header=BB84_41 Depth=1
	ds_read_b32 v30, v23
	s_waitcnt lgkmcnt(0)
	v_cmp_eq_u32_e32 vcc, v9, v30
	s_and_saveexec_b64 s[40:41], vcc
	s_cbranch_execz .LBB84_61
; %bb.60:                               ;   in Loop: Header=BB84_41 Depth=1
	v_subrev_u32_e32 v30, 64, v20
	ds_read_b128 v[30:33], v30
	s_waitcnt lgkmcnt(0)
	v_add_f64 v[5:6], v[5:6], v[30:31]
	v_add_f64 v[7:8], v[7:8], v[32:33]
.LBB84_61:                              ;   in Loop: Header=BB84_41 Depth=1
	s_or_b64 exec, exec, s[40:41]
.LBB84_62:                              ;   in Loop: Header=BB84_41 Depth=1
	s_or_b64 exec, exec, s[4:5]
	s_barrier
	ds_write_b128 v20, v[5:8]
	s_waitcnt lgkmcnt(0)
	s_barrier
	s_and_saveexec_b64 s[4:5], s[10:11]
	s_cbranch_execz .LBB84_66
; %bb.63:                               ;   in Loop: Header=BB84_41 Depth=1
	ds_read_b32 v30, v24
	s_waitcnt lgkmcnt(0)
	v_cmp_eq_u32_e32 vcc, v9, v30
	s_and_saveexec_b64 s[40:41], vcc
	s_cbranch_execz .LBB84_65
; %bb.64:                               ;   in Loop: Header=BB84_41 Depth=1
	v_add_u32_e32 v30, 0xffffff80, v20
	ds_read_b128 v[30:33], v30
	s_waitcnt lgkmcnt(0)
	v_add_f64 v[5:6], v[5:6], v[30:31]
	v_add_f64 v[7:8], v[7:8], v[32:33]
.LBB84_65:                              ;   in Loop: Header=BB84_41 Depth=1
	s_or_b64 exec, exec, s[40:41]
.LBB84_66:                              ;   in Loop: Header=BB84_41 Depth=1
	s_or_b64 exec, exec, s[4:5]
	s_barrier
	ds_write_b128 v20, v[5:8]
	s_waitcnt lgkmcnt(0)
	s_barrier
	s_and_saveexec_b64 s[4:5], s[12:13]
	s_cbranch_execz .LBB84_70
; %bb.67:                               ;   in Loop: Header=BB84_41 Depth=1
	ds_read_b32 v30, v25
	s_waitcnt lgkmcnt(0)
	v_cmp_eq_u32_e32 vcc, v9, v30
	s_and_saveexec_b64 s[40:41], vcc
	s_cbranch_execz .LBB84_69
; %bb.68:                               ;   in Loop: Header=BB84_41 Depth=1
	v_add_u32_e32 v30, 0xffffff00, v20
	ds_read_b128 v[30:33], v30
	s_waitcnt lgkmcnt(0)
	v_add_f64 v[5:6], v[5:6], v[30:31]
	v_add_f64 v[7:8], v[7:8], v[32:33]
.LBB84_69:                              ;   in Loop: Header=BB84_41 Depth=1
	s_or_b64 exec, exec, s[40:41]
.LBB84_70:                              ;   in Loop: Header=BB84_41 Depth=1
	s_or_b64 exec, exec, s[4:5]
	s_barrier
	ds_write_b128 v20, v[5:8]
	s_waitcnt lgkmcnt(0)
	s_barrier
	s_and_saveexec_b64 s[4:5], s[14:15]
	s_cbranch_execz .LBB84_74
; %bb.71:                               ;   in Loop: Header=BB84_41 Depth=1
	v_add_u32_e32 v30, 0xffffff80, v19
	ds_read_b32 v30, v30
	s_waitcnt lgkmcnt(0)
	v_cmp_eq_u32_e32 vcc, v9, v30
	s_and_saveexec_b64 s[40:41], vcc
	s_cbranch_execz .LBB84_73
; %bb.72:                               ;   in Loop: Header=BB84_41 Depth=1
	v_add_u32_e32 v30, 0xfffffe00, v20
	ds_read_b128 v[30:33], v30
	s_waitcnt lgkmcnt(0)
	v_add_f64 v[5:6], v[5:6], v[30:31]
	v_add_f64 v[7:8], v[7:8], v[32:33]
.LBB84_73:                              ;   in Loop: Header=BB84_41 Depth=1
	s_or_b64 exec, exec, s[40:41]
.LBB84_74:                              ;   in Loop: Header=BB84_41 Depth=1
	s_or_b64 exec, exec, s[4:5]
	s_barrier
	ds_write_b128 v20, v[5:8]
	s_waitcnt lgkmcnt(0)
	s_barrier
	s_and_saveexec_b64 s[4:5], s[16:17]
	s_cbranch_execz .LBB84_78
; %bb.75:                               ;   in Loop: Header=BB84_41 Depth=1
	ds_read_b32 v30, v26
	s_waitcnt lgkmcnt(0)
	v_cmp_eq_u32_e32 vcc, v9, v30
	s_and_saveexec_b64 s[40:41], vcc
	s_cbranch_execz .LBB84_77
; %bb.76:                               ;   in Loop: Header=BB84_41 Depth=1
	ds_read_b128 v[30:33], v27
	s_waitcnt lgkmcnt(0)
	v_add_f64 v[5:6], v[5:6], v[30:31]
	v_add_f64 v[7:8], v[7:8], v[32:33]
.LBB84_77:                              ;   in Loop: Header=BB84_41 Depth=1
	s_or_b64 exec, exec, s[40:41]
.LBB84_78:                              ;   in Loop: Header=BB84_41 Depth=1
	s_or_b64 exec, exec, s[4:5]
	s_barrier
	ds_write_b128 v20, v[5:8]
	s_waitcnt lgkmcnt(0)
	s_barrier
	s_and_saveexec_b64 s[4:5], s[18:19]
	s_cbranch_execz .LBB84_82
; %bb.79:                               ;   in Loop: Header=BB84_41 Depth=1
	ds_read_b32 v30, v28
	s_waitcnt lgkmcnt(0)
	v_cmp_eq_u32_e32 vcc, v9, v30
	s_and_saveexec_b64 s[40:41], vcc
	s_cbranch_execz .LBB84_81
; %bb.80:                               ;   in Loop: Header=BB84_41 Depth=1
	ds_read_b128 v[30:33], v29
	s_waitcnt lgkmcnt(0)
	v_add_f64 v[5:6], v[5:6], v[30:31]
	v_add_f64 v[7:8], v[7:8], v[32:33]
.LBB84_81:                              ;   in Loop: Header=BB84_41 Depth=1
	s_or_b64 exec, exec, s[40:41]
.LBB84_82:                              ;   in Loop: Header=BB84_41 Depth=1
	s_or_b64 exec, exec, s[4:5]
	s_barrier
	ds_write_b128 v20, v[5:8]
	s_waitcnt lgkmcnt(0)
	s_barrier
	s_and_saveexec_b64 s[40:41], s[20:21]
	s_cbranch_execz .LBB84_40
; %bb.83:                               ;   in Loop: Header=BB84_41 Depth=1
	ds_read_b32 v30, v19 offset:4
	v_cmp_lt_i32_e64 s[4:5], -1, v9
	s_waitcnt lgkmcnt(0)
	v_cmp_ne_u32_e32 vcc, v9, v30
	s_and_b64 s[4:5], s[4:5], vcc
	s_and_b64 exec, exec, s[4:5]
	s_cbranch_execz .LBB84_40
; %bb.84:                               ;   in Loop: Header=BB84_41 Depth=1
	v_lshlrev_b64 v[30:31], 4, v[9:10]
	v_mov_b32_e32 v32, s35
	v_add_co_u32_e32 v34, vcc, s34, v30
	v_addc_co_u32_e32 v35, vcc, v32, v31, vcc
	global_load_dwordx4 v[30:33], v[34:35], off
	s_waitcnt vmcnt(0)
	v_fma_f64 v[30:31], v[1:2], v[5:6], v[30:31]
	v_fma_f64 v[32:33], v[3:4], v[5:6], v[32:33]
	v_fma_f64 v[30:31], -v[3:4], v[7:8], v[30:31]
	v_fma_f64 v[32:33], v[1:2], v[7:8], v[32:33]
	global_store_dwordx4 v[34:35], v[30:33], off
	s_branch .LBB84_40
.LBB84_85:
	s_movk_i32 s0, 0xff
	v_cmp_eq_u32_e32 vcc, s0, v0
	s_and_b64 exec, exec, vcc
	s_cbranch_execz .LBB84_87
; %bb.86:
	v_mul_f64 v[10:11], v[7:8], -v[3:4]
	v_mul_f64 v[7:8], v[1:2], v[7:8]
	s_mov_b32 s7, 0
	s_lshl_b64 s[0:1], s[6:7], 2
	s_waitcnt lgkmcnt(0)
	s_add_u32 s0, s24, s0
	s_addc_u32 s1, s25, s1
	v_fma_f64 v[0:1], v[1:2], v[5:6], v[10:11]
	v_fma_f64 v[2:3], v[3:4], v[5:6], v[7:8]
	v_mov_b32_e32 v4, 0
	global_store_dword v4, v9, s[0:1] glc slc
	s_lshl_b64 s[0:1], s[6:7], 4
	s_add_u32 s0, s26, s0
	s_addc_u32 s1, s27, s1
	global_store_dwordx4 v4, v[0:3], s[0:1] glc slc
.LBB84_87:
	s_endpgm
	.section	.rodata,"a",@progbits
	.p2align	6, 0x0
	.amdhsa_kernel _ZN9rocsparseL22coomvn_segmented_loopsILj256Eid21rocsparse_complex_numIdES2_S2_EEvlT0_NS_24const_host_device_scalarIT4_EEPKS3_S8_PKT1_PKT2_PT3_PS3_PS5_21rocsparse_index_base_b
		.amdhsa_group_segment_fixed_size 5120
		.amdhsa_private_segment_fixed_size 0
		.amdhsa_kernarg_size 96
		.amdhsa_user_sgpr_count 6
		.amdhsa_user_sgpr_private_segment_buffer 1
		.amdhsa_user_sgpr_dispatch_ptr 0
		.amdhsa_user_sgpr_queue_ptr 0
		.amdhsa_user_sgpr_kernarg_segment_ptr 1
		.amdhsa_user_sgpr_dispatch_id 0
		.amdhsa_user_sgpr_flat_scratch_init 0
		.amdhsa_user_sgpr_private_segment_size 0
		.amdhsa_uses_dynamic_stack 0
		.amdhsa_system_sgpr_private_segment_wavefront_offset 0
		.amdhsa_system_sgpr_workgroup_id_x 1
		.amdhsa_system_sgpr_workgroup_id_y 0
		.amdhsa_system_sgpr_workgroup_id_z 0
		.amdhsa_system_sgpr_workgroup_info 0
		.amdhsa_system_vgpr_workitem_id 0
		.amdhsa_next_free_vgpr 38
		.amdhsa_next_free_sgpr 44
		.amdhsa_reserve_vcc 1
		.amdhsa_reserve_flat_scratch 0
		.amdhsa_float_round_mode_32 0
		.amdhsa_float_round_mode_16_64 0
		.amdhsa_float_denorm_mode_32 3
		.amdhsa_float_denorm_mode_16_64 3
		.amdhsa_dx10_clamp 1
		.amdhsa_ieee_mode 1
		.amdhsa_fp16_overflow 0
		.amdhsa_exception_fp_ieee_invalid_op 0
		.amdhsa_exception_fp_denorm_src 0
		.amdhsa_exception_fp_ieee_div_zero 0
		.amdhsa_exception_fp_ieee_overflow 0
		.amdhsa_exception_fp_ieee_underflow 0
		.amdhsa_exception_fp_ieee_inexact 0
		.amdhsa_exception_int_div_zero 0
	.end_amdhsa_kernel
	.section	.text._ZN9rocsparseL22coomvn_segmented_loopsILj256Eid21rocsparse_complex_numIdES2_S2_EEvlT0_NS_24const_host_device_scalarIT4_EEPKS3_S8_PKT1_PKT2_PT3_PS3_PS5_21rocsparse_index_base_b,"axG",@progbits,_ZN9rocsparseL22coomvn_segmented_loopsILj256Eid21rocsparse_complex_numIdES2_S2_EEvlT0_NS_24const_host_device_scalarIT4_EEPKS3_S8_PKT1_PKT2_PT3_PS3_PS5_21rocsparse_index_base_b,comdat
.Lfunc_end84:
	.size	_ZN9rocsparseL22coomvn_segmented_loopsILj256Eid21rocsparse_complex_numIdES2_S2_EEvlT0_NS_24const_host_device_scalarIT4_EEPKS3_S8_PKT1_PKT2_PT3_PS3_PS5_21rocsparse_index_base_b, .Lfunc_end84-_ZN9rocsparseL22coomvn_segmented_loopsILj256Eid21rocsparse_complex_numIdES2_S2_EEvlT0_NS_24const_host_device_scalarIT4_EEPKS3_S8_PKT1_PKT2_PT3_PS3_PS5_21rocsparse_index_base_b
                                        ; -- End function
	.set _ZN9rocsparseL22coomvn_segmented_loopsILj256Eid21rocsparse_complex_numIdES2_S2_EEvlT0_NS_24const_host_device_scalarIT4_EEPKS3_S8_PKT1_PKT2_PT3_PS3_PS5_21rocsparse_index_base_b.num_vgpr, 38
	.set _ZN9rocsparseL22coomvn_segmented_loopsILj256Eid21rocsparse_complex_numIdES2_S2_EEvlT0_NS_24const_host_device_scalarIT4_EEPKS3_S8_PKT1_PKT2_PT3_PS3_PS5_21rocsparse_index_base_b.num_agpr, 0
	.set _ZN9rocsparseL22coomvn_segmented_loopsILj256Eid21rocsparse_complex_numIdES2_S2_EEvlT0_NS_24const_host_device_scalarIT4_EEPKS3_S8_PKT1_PKT2_PT3_PS3_PS5_21rocsparse_index_base_b.numbered_sgpr, 44
	.set _ZN9rocsparseL22coomvn_segmented_loopsILj256Eid21rocsparse_complex_numIdES2_S2_EEvlT0_NS_24const_host_device_scalarIT4_EEPKS3_S8_PKT1_PKT2_PT3_PS3_PS5_21rocsparse_index_base_b.num_named_barrier, 0
	.set _ZN9rocsparseL22coomvn_segmented_loopsILj256Eid21rocsparse_complex_numIdES2_S2_EEvlT0_NS_24const_host_device_scalarIT4_EEPKS3_S8_PKT1_PKT2_PT3_PS3_PS5_21rocsparse_index_base_b.private_seg_size, 0
	.set _ZN9rocsparseL22coomvn_segmented_loopsILj256Eid21rocsparse_complex_numIdES2_S2_EEvlT0_NS_24const_host_device_scalarIT4_EEPKS3_S8_PKT1_PKT2_PT3_PS3_PS5_21rocsparse_index_base_b.uses_vcc, 1
	.set _ZN9rocsparseL22coomvn_segmented_loopsILj256Eid21rocsparse_complex_numIdES2_S2_EEvlT0_NS_24const_host_device_scalarIT4_EEPKS3_S8_PKT1_PKT2_PT3_PS3_PS5_21rocsparse_index_base_b.uses_flat_scratch, 0
	.set _ZN9rocsparseL22coomvn_segmented_loopsILj256Eid21rocsparse_complex_numIdES2_S2_EEvlT0_NS_24const_host_device_scalarIT4_EEPKS3_S8_PKT1_PKT2_PT3_PS3_PS5_21rocsparse_index_base_b.has_dyn_sized_stack, 0
	.set _ZN9rocsparseL22coomvn_segmented_loopsILj256Eid21rocsparse_complex_numIdES2_S2_EEvlT0_NS_24const_host_device_scalarIT4_EEPKS3_S8_PKT1_PKT2_PT3_PS3_PS5_21rocsparse_index_base_b.has_recursion, 0
	.set _ZN9rocsparseL22coomvn_segmented_loopsILj256Eid21rocsparse_complex_numIdES2_S2_EEvlT0_NS_24const_host_device_scalarIT4_EEPKS3_S8_PKT1_PKT2_PT3_PS3_PS5_21rocsparse_index_base_b.has_indirect_call, 0
	.section	.AMDGPU.csdata,"",@progbits
; Kernel info:
; codeLenInByte = 2956
; TotalNumSgprs: 48
; NumVgprs: 38
; ScratchSize: 0
; MemoryBound: 1
; FloatMode: 240
; IeeeMode: 1
; LDSByteSize: 5120 bytes/workgroup (compile time only)
; SGPRBlocks: 5
; VGPRBlocks: 9
; NumSGPRsForWavesPerEU: 48
; NumVGPRsForWavesPerEU: 38
; Occupancy: 6
; WaveLimiterHint : 1
; COMPUTE_PGM_RSRC2:SCRATCH_EN: 0
; COMPUTE_PGM_RSRC2:USER_SGPR: 6
; COMPUTE_PGM_RSRC2:TRAP_HANDLER: 0
; COMPUTE_PGM_RSRC2:TGID_X_EN: 1
; COMPUTE_PGM_RSRC2:TGID_Y_EN: 0
; COMPUTE_PGM_RSRC2:TGID_Z_EN: 0
; COMPUTE_PGM_RSRC2:TIDIG_COMP_CNT: 0
	.section	.text._ZN9rocsparseL13coomvt_kernelILj1024Eid21rocsparse_complex_numIdES2_S2_EEv20rocsparse_operation_lNS_24const_host_device_scalarIT4_EEPKT0_S9_PKT1_PKT2_PT3_21rocsparse_index_base_b,"axG",@progbits,_ZN9rocsparseL13coomvt_kernelILj1024Eid21rocsparse_complex_numIdES2_S2_EEv20rocsparse_operation_lNS_24const_host_device_scalarIT4_EEPKT0_S9_PKT1_PKT2_PT3_21rocsparse_index_base_b,comdat
	.globl	_ZN9rocsparseL13coomvt_kernelILj1024Eid21rocsparse_complex_numIdES2_S2_EEv20rocsparse_operation_lNS_24const_host_device_scalarIT4_EEPKT0_S9_PKT1_PKT2_PT3_21rocsparse_index_base_b ; -- Begin function _ZN9rocsparseL13coomvt_kernelILj1024Eid21rocsparse_complex_numIdES2_S2_EEv20rocsparse_operation_lNS_24const_host_device_scalarIT4_EEPKT0_S9_PKT1_PKT2_PT3_21rocsparse_index_base_b
	.p2align	8
	.type	_ZN9rocsparseL13coomvt_kernelILj1024Eid21rocsparse_complex_numIdES2_S2_EEv20rocsparse_operation_lNS_24const_host_device_scalarIT4_EEPKT0_S9_PKT1_PKT2_PT3_21rocsparse_index_base_b,@function
_ZN9rocsparseL13coomvt_kernelILj1024Eid21rocsparse_complex_numIdES2_S2_EEv20rocsparse_operation_lNS_24const_host_device_scalarIT4_EEPKT0_S9_PKT1_PKT2_PT3_21rocsparse_index_base_b: ; @_ZN9rocsparseL13coomvt_kernelILj1024Eid21rocsparse_complex_numIdES2_S2_EEv20rocsparse_operation_lNS_24const_host_device_scalarIT4_EEPKT0_S9_PKT1_PKT2_PT3_21rocsparse_index_base_b
; %bb.0:
	s_load_dwordx2 s[2:3], s[4:5], 0x48
	s_load_dwordx4 s[8:11], s[4:5], 0x8
	s_add_u32 s0, s4, 16
	s_addc_u32 s1, s5, 0
	s_waitcnt lgkmcnt(0)
	s_bitcmp1_b32 s3, 0
	s_cselect_b32 s1, s1, s11
	s_cselect_b32 s0, s0, s10
	v_mov_b32_e32 v1, s0
	v_mov_b32_e32 v2, s1
	flat_load_dwordx4 v[1:4], v[1:2]
	s_waitcnt vmcnt(0) lgkmcnt(0)
	v_cmp_neq_f64_e32 vcc, 0, v[1:2]
	v_cmp_neq_f64_e64 s[0:1], 0, v[3:4]
	s_or_b64 s[0:1], vcc, s[0:1]
	s_and_saveexec_b64 s[10:11], s[0:1]
	s_cbranch_execz .LBB85_6
; %bb.1:
	s_load_dword s0, s[4:5], 0x5c
	v_mov_b32_e32 v6, 0
	s_waitcnt lgkmcnt(0)
	s_and_b32 s0, s0, 0xffff
	s_mul_i32 s6, s6, s0
	v_add_u32_e32 v5, s6, v0
	v_cmp_gt_i64_e32 vcc, s[8:9], v[5:6]
	s_and_b64 exec, exec, vcc
	s_cbranch_execz .LBB85_6
; %bb.2:
	s_load_dwordx8 s[8:15], s[4:5], 0x20
	v_lshlrev_b64 v[7:8], 2, v[5:6]
	v_lshlrev_b64 v[5:6], 3, v[5:6]
	s_load_dwordx2 s[0:1], s[4:5], 0x40
	v_mul_f64 v[15:16], v[1:2], 0
	s_waitcnt lgkmcnt(0)
	v_mov_b32_e32 v0, s9
	v_add_co_u32_e32 v9, vcc, s8, v7
	v_addc_co_u32_e32 v10, vcc, v0, v8, vcc
	global_load_dword v0, v[9:10], off
	v_mov_b32_e32 v9, s11
	v_add_co_u32_e32 v7, vcc, s10, v7
	v_addc_co_u32_e32 v8, vcc, v9, v8, vcc
	global_load_dword v11, v[7:8], off
	v_mov_b32_e32 v7, s13
	v_add_co_u32_e32 v5, vcc, s12, v5
	v_addc_co_u32_e32 v6, vcc, v7, v6, vcc
	global_load_dwordx2 v[9:10], v[5:6], off
	v_mov_b32_e32 v8, s15
	s_waitcnt vmcnt(2)
	v_subrev_u32_e32 v5, s2, v0
	v_ashrrev_i32_e32 v6, 31, v5
	v_lshlrev_b64 v[5:6], 4, v[5:6]
	v_mov_b32_e32 v0, s1
	v_add_co_u32_e32 v5, vcc, s14, v5
	v_addc_co_u32_e32 v6, vcc, v8, v6, vcc
	global_load_dwordx4 v[5:8], v[5:6], off
	s_waitcnt vmcnt(2)
	v_subrev_u32_e32 v11, s2, v11
	v_ashrrev_i32_e32 v12, 31, v11
	v_lshlrev_b64 v[11:12], 4, v[11:12]
	s_waitcnt vmcnt(1)
	v_fma_f64 v[15:16], v[3:4], v[9:10], v[15:16]
	v_add_co_u32_e32 v13, vcc, s0, v11
	v_addc_co_u32_e32 v14, vcc, v0, v12, vcc
	global_load_dwordx2 v[11:12], v[13:14], off
	s_mov_b32 s0, 0
	s_brev_b32 s1, 1
	v_mul_f64 v[17:18], v[3:4], s[0:1]
	s_mov_b64 s[0:1], 0
	v_fma_f64 v[0:1], v[1:2], v[9:10], v[17:18]
	s_waitcnt vmcnt(1)
	v_mul_f64 v[2:3], v[7:8], -v[15:16]
	v_fma_f64 v[2:3], v[0:1], v[5:6], v[2:3]
.LBB85_3:                               ; =>This Inner Loop Header: Depth=1
	s_waitcnt vmcnt(0)
	v_add_f64 v[9:10], v[11:12], v[2:3]
	global_atomic_cmpswap_x2 v[9:10], v[13:14], v[9:12], off glc
	s_waitcnt vmcnt(0)
	v_cmp_eq_u64_e32 vcc, v[9:10], v[11:12]
	v_mov_b32_e32 v12, v10
	s_or_b64 s[0:1], vcc, s[0:1]
	v_mov_b32_e32 v11, v9
	s_andn2_b64 exec, exec, s[0:1]
	s_cbranch_execnz .LBB85_3
; %bb.4:
	s_or_b64 exec, exec, s[0:1]
	global_load_dwordx2 v[2:3], v[13:14], off offset:8
	v_mul_f64 v[0:1], v[0:1], v[7:8]
	s_mov_b64 s[0:1], 0
	v_fma_f64 v[4:5], v[15:16], v[5:6], v[0:1]
.LBB85_5:                               ; =>This Inner Loop Header: Depth=1
	s_waitcnt vmcnt(0)
	v_add_f64 v[0:1], v[2:3], v[4:5]
	global_atomic_cmpswap_x2 v[0:1], v[13:14], v[0:3], off offset:8 glc
	s_waitcnt vmcnt(0)
	v_cmp_eq_u64_e32 vcc, v[0:1], v[2:3]
	v_mov_b32_e32 v3, v1
	s_or_b64 s[0:1], vcc, s[0:1]
	v_mov_b32_e32 v2, v0
	s_andn2_b64 exec, exec, s[0:1]
	s_cbranch_execnz .LBB85_5
.LBB85_6:
	s_endpgm
	.section	.rodata,"a",@progbits
	.p2align	6, 0x0
	.amdhsa_kernel _ZN9rocsparseL13coomvt_kernelILj1024Eid21rocsparse_complex_numIdES2_S2_EEv20rocsparse_operation_lNS_24const_host_device_scalarIT4_EEPKT0_S9_PKT1_PKT2_PT3_21rocsparse_index_base_b
		.amdhsa_group_segment_fixed_size 0
		.amdhsa_private_segment_fixed_size 0
		.amdhsa_kernarg_size 336
		.amdhsa_user_sgpr_count 6
		.amdhsa_user_sgpr_private_segment_buffer 1
		.amdhsa_user_sgpr_dispatch_ptr 0
		.amdhsa_user_sgpr_queue_ptr 0
		.amdhsa_user_sgpr_kernarg_segment_ptr 1
		.amdhsa_user_sgpr_dispatch_id 0
		.amdhsa_user_sgpr_flat_scratch_init 0
		.amdhsa_user_sgpr_private_segment_size 0
		.amdhsa_uses_dynamic_stack 0
		.amdhsa_system_sgpr_private_segment_wavefront_offset 0
		.amdhsa_system_sgpr_workgroup_id_x 1
		.amdhsa_system_sgpr_workgroup_id_y 0
		.amdhsa_system_sgpr_workgroup_id_z 0
		.amdhsa_system_sgpr_workgroup_info 0
		.amdhsa_system_vgpr_workitem_id 0
		.amdhsa_next_free_vgpr 19
		.amdhsa_next_free_sgpr 16
		.amdhsa_reserve_vcc 1
		.amdhsa_reserve_flat_scratch 0
		.amdhsa_float_round_mode_32 0
		.amdhsa_float_round_mode_16_64 0
		.amdhsa_float_denorm_mode_32 3
		.amdhsa_float_denorm_mode_16_64 3
		.amdhsa_dx10_clamp 1
		.amdhsa_ieee_mode 1
		.amdhsa_fp16_overflow 0
		.amdhsa_exception_fp_ieee_invalid_op 0
		.amdhsa_exception_fp_denorm_src 0
		.amdhsa_exception_fp_ieee_div_zero 0
		.amdhsa_exception_fp_ieee_overflow 0
		.amdhsa_exception_fp_ieee_underflow 0
		.amdhsa_exception_fp_ieee_inexact 0
		.amdhsa_exception_int_div_zero 0
	.end_amdhsa_kernel
	.section	.text._ZN9rocsparseL13coomvt_kernelILj1024Eid21rocsparse_complex_numIdES2_S2_EEv20rocsparse_operation_lNS_24const_host_device_scalarIT4_EEPKT0_S9_PKT1_PKT2_PT3_21rocsparse_index_base_b,"axG",@progbits,_ZN9rocsparseL13coomvt_kernelILj1024Eid21rocsparse_complex_numIdES2_S2_EEv20rocsparse_operation_lNS_24const_host_device_scalarIT4_EEPKT0_S9_PKT1_PKT2_PT3_21rocsparse_index_base_b,comdat
.Lfunc_end85:
	.size	_ZN9rocsparseL13coomvt_kernelILj1024Eid21rocsparse_complex_numIdES2_S2_EEv20rocsparse_operation_lNS_24const_host_device_scalarIT4_EEPKT0_S9_PKT1_PKT2_PT3_21rocsparse_index_base_b, .Lfunc_end85-_ZN9rocsparseL13coomvt_kernelILj1024Eid21rocsparse_complex_numIdES2_S2_EEv20rocsparse_operation_lNS_24const_host_device_scalarIT4_EEPKT0_S9_PKT1_PKT2_PT3_21rocsparse_index_base_b
                                        ; -- End function
	.set _ZN9rocsparseL13coomvt_kernelILj1024Eid21rocsparse_complex_numIdES2_S2_EEv20rocsparse_operation_lNS_24const_host_device_scalarIT4_EEPKT0_S9_PKT1_PKT2_PT3_21rocsparse_index_base_b.num_vgpr, 19
	.set _ZN9rocsparseL13coomvt_kernelILj1024Eid21rocsparse_complex_numIdES2_S2_EEv20rocsparse_operation_lNS_24const_host_device_scalarIT4_EEPKT0_S9_PKT1_PKT2_PT3_21rocsparse_index_base_b.num_agpr, 0
	.set _ZN9rocsparseL13coomvt_kernelILj1024Eid21rocsparse_complex_numIdES2_S2_EEv20rocsparse_operation_lNS_24const_host_device_scalarIT4_EEPKT0_S9_PKT1_PKT2_PT3_21rocsparse_index_base_b.numbered_sgpr, 16
	.set _ZN9rocsparseL13coomvt_kernelILj1024Eid21rocsparse_complex_numIdES2_S2_EEv20rocsparse_operation_lNS_24const_host_device_scalarIT4_EEPKT0_S9_PKT1_PKT2_PT3_21rocsparse_index_base_b.num_named_barrier, 0
	.set _ZN9rocsparseL13coomvt_kernelILj1024Eid21rocsparse_complex_numIdES2_S2_EEv20rocsparse_operation_lNS_24const_host_device_scalarIT4_EEPKT0_S9_PKT1_PKT2_PT3_21rocsparse_index_base_b.private_seg_size, 0
	.set _ZN9rocsparseL13coomvt_kernelILj1024Eid21rocsparse_complex_numIdES2_S2_EEv20rocsparse_operation_lNS_24const_host_device_scalarIT4_EEPKT0_S9_PKT1_PKT2_PT3_21rocsparse_index_base_b.uses_vcc, 1
	.set _ZN9rocsparseL13coomvt_kernelILj1024Eid21rocsparse_complex_numIdES2_S2_EEv20rocsparse_operation_lNS_24const_host_device_scalarIT4_EEPKT0_S9_PKT1_PKT2_PT3_21rocsparse_index_base_b.uses_flat_scratch, 0
	.set _ZN9rocsparseL13coomvt_kernelILj1024Eid21rocsparse_complex_numIdES2_S2_EEv20rocsparse_operation_lNS_24const_host_device_scalarIT4_EEPKT0_S9_PKT1_PKT2_PT3_21rocsparse_index_base_b.has_dyn_sized_stack, 0
	.set _ZN9rocsparseL13coomvt_kernelILj1024Eid21rocsparse_complex_numIdES2_S2_EEv20rocsparse_operation_lNS_24const_host_device_scalarIT4_EEPKT0_S9_PKT1_PKT2_PT3_21rocsparse_index_base_b.has_recursion, 0
	.set _ZN9rocsparseL13coomvt_kernelILj1024Eid21rocsparse_complex_numIdES2_S2_EEv20rocsparse_operation_lNS_24const_host_device_scalarIT4_EEPKT0_S9_PKT1_PKT2_PT3_21rocsparse_index_base_b.has_indirect_call, 0
	.section	.AMDGPU.csdata,"",@progbits
; Kernel info:
; codeLenInByte = 504
; TotalNumSgprs: 20
; NumVgprs: 19
; ScratchSize: 0
; MemoryBound: 0
; FloatMode: 240
; IeeeMode: 1
; LDSByteSize: 0 bytes/workgroup (compile time only)
; SGPRBlocks: 2
; VGPRBlocks: 4
; NumSGPRsForWavesPerEU: 20
; NumVGPRsForWavesPerEU: 19
; Occupancy: 10
; WaveLimiterHint : 1
; COMPUTE_PGM_RSRC2:SCRATCH_EN: 0
; COMPUTE_PGM_RSRC2:USER_SGPR: 6
; COMPUTE_PGM_RSRC2:TRAP_HANDLER: 0
; COMPUTE_PGM_RSRC2:TGID_X_EN: 1
; COMPUTE_PGM_RSRC2:TGID_Y_EN: 0
; COMPUTE_PGM_RSRC2:TGID_Z_EN: 0
; COMPUTE_PGM_RSRC2:TIDIG_COMP_CNT: 0
	.section	.text._ZN9rocsparseL19coomvn_atomic_loopsILj256ELj1Eid21rocsparse_complex_numIdES2_S2_EEvlNS_24const_host_device_scalarIT5_EEPKT1_S8_PKT2_PKT3_PT4_21rocsparse_index_base_b,"axG",@progbits,_ZN9rocsparseL19coomvn_atomic_loopsILj256ELj1Eid21rocsparse_complex_numIdES2_S2_EEvlNS_24const_host_device_scalarIT5_EEPKT1_S8_PKT2_PKT3_PT4_21rocsparse_index_base_b,comdat
	.globl	_ZN9rocsparseL19coomvn_atomic_loopsILj256ELj1Eid21rocsparse_complex_numIdES2_S2_EEvlNS_24const_host_device_scalarIT5_EEPKT1_S8_PKT2_PKT3_PT4_21rocsparse_index_base_b ; -- Begin function _ZN9rocsparseL19coomvn_atomic_loopsILj256ELj1Eid21rocsparse_complex_numIdES2_S2_EEvlNS_24const_host_device_scalarIT5_EEPKT1_S8_PKT2_PKT3_PT4_21rocsparse_index_base_b
	.p2align	8
	.type	_ZN9rocsparseL19coomvn_atomic_loopsILj256ELj1Eid21rocsparse_complex_numIdES2_S2_EEvlNS_24const_host_device_scalarIT5_EEPKT1_S8_PKT2_PKT3_PT4_21rocsparse_index_base_b,@function
_ZN9rocsparseL19coomvn_atomic_loopsILj256ELj1Eid21rocsparse_complex_numIdES2_S2_EEvlNS_24const_host_device_scalarIT5_EEPKT1_S8_PKT2_PKT3_PT4_21rocsparse_index_base_b: ; @_ZN9rocsparseL19coomvn_atomic_loopsILj256ELj1Eid21rocsparse_complex_numIdES2_S2_EEvlNS_24const_host_device_scalarIT5_EEPKT1_S8_PKT2_PKT3_PT4_21rocsparse_index_base_b
; %bb.0:
	s_load_dwordx2 s[2:3], s[4:5], 0x40
	s_load_dwordx4 s[8:11], s[4:5], 0x0
	s_or_b32 s0, s4, 8
	s_waitcnt lgkmcnt(0)
	s_bitcmp1_b32 s3, 0
	s_cselect_b32 s1, s5, s11
	s_cselect_b32 s0, s0, s10
	v_mov_b32_e32 v1, s0
	v_mov_b32_e32 v2, s1
	flat_load_dwordx4 v[1:4], v[1:2]
	s_waitcnt vmcnt(0) lgkmcnt(0)
	v_cmp_neq_f64_e32 vcc, 0, v[1:2]
	v_cmp_neq_f64_e64 s[0:1], 0, v[3:4]
	s_or_b64 s[0:1], vcc, s[0:1]
	s_and_saveexec_b64 s[10:11], s[0:1]
	s_cbranch_execz .LBB86_46
; %bb.1:
	v_mov_b32_e32 v5, 0
	v_lshl_or_b32 v9, s6, 8, v0
	v_mov_b32_e32 v10, 0
	v_mov_b32_e32 v6, 0
	v_cmp_gt_i64_e32 vcc, s[8:9], v[9:10]
	v_mov_b32_e32 v8, v6
	v_mov_b32_e32 v13, -1
	v_mov_b32_e32 v7, v5
	s_and_saveexec_b64 s[0:1], vcc
	s_cbranch_execz .LBB86_3
; %bb.2:
	s_load_dwordx8 s[8:15], s[4:5], 0x18
	v_lshlrev_b64 v[5:6], 2, v[9:10]
	s_mov_b32 s6, 0
	s_brev_b32 s7, 1
	s_waitcnt lgkmcnt(0)
	v_mov_b32_e32 v8, s11
	v_add_co_u32_e32 v7, vcc, s10, v5
	v_addc_co_u32_e32 v8, vcc, v8, v6, vcc
	global_load_dword v13, v[7:8], off glc slc
	v_lshlrev_b64 v[7:8], 3, v[9:10]
	v_mov_b32_e32 v9, s13
	v_add_co_u32_e32 v11, vcc, s12, v7
	v_addc_co_u32_e32 v12, vcc, v9, v8, vcc
	v_mov_b32_e32 v10, s15
	s_waitcnt vmcnt(0)
	v_subrev_u32_e32 v7, s2, v13
	v_ashrrev_i32_e32 v8, 31, v7
	v_lshlrev_b64 v[7:8], 4, v[7:8]
	v_add_co_u32_e32 v13, vcc, s14, v7
	v_addc_co_u32_e32 v14, vcc, v10, v8, vcc
	global_load_dwordx4 v[7:10], v[13:14], off
	global_load_dwordx2 v[15:16], v[11:12], off glc slc
	v_mov_b32_e32 v11, s9
	v_add_co_u32_e32 v5, vcc, s8, v5
	v_addc_co_u32_e32 v6, vcc, v11, v6, vcc
	global_load_dword v11, v[5:6], off glc slc
	s_waitcnt vmcnt(2)
	v_mul_f64 v[5:6], v[9:10], s[6:7]
	s_waitcnt vmcnt(1)
	v_mul_f64 v[9:10], v[15:16], v[9:10]
	s_waitcnt vmcnt(0)
	v_subrev_u32_e32 v13, s2, v11
	v_fma_f64 v[5:6], v[15:16], v[7:8], v[5:6]
	v_fma_f64 v[7:8], v[7:8], 0, v[9:10]
.LBB86_3:
	s_or_b64 exec, exec, s[0:1]
	v_lshlrev_b32_e32 v10, 2, v0
	v_or_b32_e32 v9, 0x1000, v10
	ds_write_b32 v10, v13 offset:4096
	v_lshlrev_b32_e32 v10, 4, v0
	v_cmp_ne_u32_e32 vcc, 0, v0
	ds_write_b128 v10, v[5:8]
	s_waitcnt lgkmcnt(0)
	s_barrier
	s_and_saveexec_b64 s[0:1], vcc
	s_cbranch_execz .LBB86_7
; %bb.4:
	v_add_u32_e32 v11, -4, v9
	ds_read_b32 v11, v11
	s_waitcnt lgkmcnt(0)
	v_cmp_eq_u32_e32 vcc, v13, v11
	s_and_saveexec_b64 s[2:3], vcc
	s_cbranch_execz .LBB86_6
; %bb.5:
	v_add_u32_e32 v11, -16, v10
	ds_read_b128 v[14:17], v11
	s_waitcnt lgkmcnt(0)
	v_add_f64 v[5:6], v[5:6], v[14:15]
	v_add_f64 v[7:8], v[7:8], v[16:17]
.LBB86_6:
	s_or_b64 exec, exec, s[2:3]
.LBB86_7:
	s_or_b64 exec, exec, s[0:1]
	v_cmp_lt_u32_e32 vcc, 1, v0
	s_barrier
	ds_write_b128 v10, v[5:8]
	s_waitcnt lgkmcnt(0)
	s_barrier
	s_and_saveexec_b64 s[0:1], vcc
	s_cbranch_execz .LBB86_11
; %bb.8:
	v_add_u32_e32 v11, -8, v9
	ds_read_b32 v11, v11
	s_waitcnt lgkmcnt(0)
	v_cmp_eq_u32_e32 vcc, v13, v11
	s_and_saveexec_b64 s[2:3], vcc
	s_cbranch_execz .LBB86_10
; %bb.9:
	v_subrev_u32_e32 v11, 32, v10
	ds_read_b128 v[14:17], v11
	s_waitcnt lgkmcnt(0)
	v_add_f64 v[5:6], v[5:6], v[14:15]
	v_add_f64 v[7:8], v[7:8], v[16:17]
.LBB86_10:
	s_or_b64 exec, exec, s[2:3]
.LBB86_11:
	s_or_b64 exec, exec, s[0:1]
	v_cmp_lt_u32_e32 vcc, 3, v0
	s_barrier
	ds_write_b128 v10, v[5:8]
	s_waitcnt lgkmcnt(0)
	s_barrier
	s_and_saveexec_b64 s[0:1], vcc
	s_cbranch_execz .LBB86_15
; %bb.12:
	v_add_u32_e32 v11, -16, v9
	ds_read_b32 v11, v11
	s_waitcnt lgkmcnt(0)
	v_cmp_eq_u32_e32 vcc, v13, v11
	s_and_saveexec_b64 s[2:3], vcc
	s_cbranch_execz .LBB86_14
; %bb.13:
	v_subrev_u32_e32 v11, 64, v10
	ds_read_b128 v[14:17], v11
	s_waitcnt lgkmcnt(0)
	v_add_f64 v[5:6], v[5:6], v[14:15]
	v_add_f64 v[7:8], v[7:8], v[16:17]
.LBB86_14:
	s_or_b64 exec, exec, s[2:3]
.LBB86_15:
	s_or_b64 exec, exec, s[0:1]
	v_cmp_lt_u32_e32 vcc, 7, v0
	s_barrier
	ds_write_b128 v10, v[5:8]
	s_waitcnt lgkmcnt(0)
	s_barrier
	s_and_saveexec_b64 s[0:1], vcc
	s_cbranch_execz .LBB86_19
; %bb.16:
	v_subrev_u32_e32 v11, 32, v9
	ds_read_b32 v11, v11
	s_waitcnt lgkmcnt(0)
	v_cmp_eq_u32_e32 vcc, v13, v11
	s_and_saveexec_b64 s[2:3], vcc
	s_cbranch_execz .LBB86_18
; %bb.17:
	v_add_u32_e32 v11, 0xffffff80, v10
	ds_read_b128 v[14:17], v11
	s_waitcnt lgkmcnt(0)
	v_add_f64 v[5:6], v[5:6], v[14:15]
	v_add_f64 v[7:8], v[7:8], v[16:17]
.LBB86_18:
	s_or_b64 exec, exec, s[2:3]
.LBB86_19:
	s_or_b64 exec, exec, s[0:1]
	v_cmp_lt_u32_e32 vcc, 15, v0
	s_barrier
	ds_write_b128 v10, v[5:8]
	s_waitcnt lgkmcnt(0)
	s_barrier
	s_and_saveexec_b64 s[0:1], vcc
	s_cbranch_execz .LBB86_23
; %bb.20:
	v_subrev_u32_e32 v11, 64, v9
	ds_read_b32 v11, v11
	s_waitcnt lgkmcnt(0)
	v_cmp_eq_u32_e32 vcc, v13, v11
	s_and_saveexec_b64 s[2:3], vcc
	s_cbranch_execz .LBB86_22
; %bb.21:
	v_add_u32_e32 v11, 0xffffff00, v10
	ds_read_b128 v[14:17], v11
	s_waitcnt lgkmcnt(0)
	v_add_f64 v[5:6], v[5:6], v[14:15]
	v_add_f64 v[7:8], v[7:8], v[16:17]
.LBB86_22:
	s_or_b64 exec, exec, s[2:3]
.LBB86_23:
	s_or_b64 exec, exec, s[0:1]
	v_cmp_lt_u32_e32 vcc, 31, v0
	s_barrier
	ds_write_b128 v10, v[5:8]
	s_waitcnt lgkmcnt(0)
	s_barrier
	s_and_saveexec_b64 s[0:1], vcc
	s_cbranch_execz .LBB86_27
; %bb.24:
	v_add_u32_e32 v11, 0xffffff80, v9
	ds_read_b32 v11, v11
	s_waitcnt lgkmcnt(0)
	v_cmp_eq_u32_e32 vcc, v13, v11
	s_and_saveexec_b64 s[2:3], vcc
	s_cbranch_execz .LBB86_26
; %bb.25:
	v_add_u32_e32 v11, 0xfffffe00, v10
	ds_read_b128 v[14:17], v11
	s_waitcnt lgkmcnt(0)
	v_add_f64 v[5:6], v[5:6], v[14:15]
	v_add_f64 v[7:8], v[7:8], v[16:17]
.LBB86_26:
	s_or_b64 exec, exec, s[2:3]
.LBB86_27:
	s_or_b64 exec, exec, s[0:1]
	v_cmp_lt_u32_e32 vcc, 63, v0
	s_barrier
	ds_write_b128 v10, v[5:8]
	s_waitcnt lgkmcnt(0)
	s_barrier
	s_and_saveexec_b64 s[0:1], vcc
	s_cbranch_execz .LBB86_31
; %bb.28:
	v_add_u32_e32 v11, 0xffffff00, v9
	ds_read_b32 v11, v11
	s_waitcnt lgkmcnt(0)
	v_cmp_eq_u32_e32 vcc, v13, v11
	s_and_saveexec_b64 s[2:3], vcc
	s_cbranch_execz .LBB86_30
; %bb.29:
	v_add_u32_e32 v11, 0xfffffc00, v10
	ds_read_b128 v[14:17], v11
	s_waitcnt lgkmcnt(0)
	v_add_f64 v[5:6], v[5:6], v[14:15]
	v_add_f64 v[7:8], v[7:8], v[16:17]
.LBB86_30:
	s_or_b64 exec, exec, s[2:3]
.LBB86_31:
	s_or_b64 exec, exec, s[0:1]
	s_load_dwordx2 s[2:3], s[4:5], 0x38
	s_movk_i32 s0, 0x7f
	v_cmp_lt_u32_e32 vcc, s0, v0
	s_waitcnt lgkmcnt(0)
	s_barrier
	ds_write_b128 v10, v[5:8]
	s_waitcnt lgkmcnt(0)
	s_barrier
	s_and_saveexec_b64 s[0:1], vcc
	s_cbranch_execz .LBB86_35
; %bb.32:
	v_add_u32_e32 v11, 0xfffffe00, v9
	ds_read_b32 v11, v11
	s_waitcnt lgkmcnt(0)
	v_cmp_eq_u32_e32 vcc, v13, v11
	s_and_saveexec_b64 s[4:5], vcc
	s_cbranch_execz .LBB86_34
; %bb.33:
	v_add_u32_e32 v11, 0xfffff800, v10
	ds_read_b128 v[14:17], v11
	s_waitcnt lgkmcnt(0)
	v_add_f64 v[5:6], v[5:6], v[14:15]
	v_add_f64 v[7:8], v[7:8], v[16:17]
.LBB86_34:
	s_or_b64 exec, exec, s[4:5]
.LBB86_35:
	s_or_b64 exec, exec, s[0:1]
	s_movk_i32 s6, 0xff
	v_cmp_gt_u32_e32 vcc, s6, v0
	s_barrier
	ds_write_b128 v10, v[5:8]
	s_waitcnt lgkmcnt(0)
	s_barrier
	s_and_saveexec_b64 s[4:5], vcc
	s_cbranch_execz .LBB86_41
; %bb.36:
	ds_read_b32 v9, v9 offset:4
	v_cmp_lt_i32_e64 s[0:1], -1, v13
	s_waitcnt lgkmcnt(0)
	v_cmp_ne_u32_e32 vcc, v13, v9
	s_and_b64 s[0:1], s[0:1], vcc
	s_and_b64 exec, exec, s[0:1]
	s_cbranch_execz .LBB86_41
; %bb.37:
	v_mov_b32_e32 v14, 0
	v_lshlrev_b64 v[9:10], 4, v[13:14]
	v_mov_b32_e32 v11, s3
	v_add_co_u32_e32 v14, vcc, s2, v9
	v_addc_co_u32_e32 v15, vcc, v11, v10, vcc
	global_load_dwordx2 v[11:12], v[14:15], off
	v_mul_f64 v[9:10], v[7:8], -v[3:4]
	s_mov_b64 s[0:1], 0
	v_fma_f64 v[16:17], v[1:2], v[5:6], v[9:10]
.LBB86_38:                              ; =>This Inner Loop Header: Depth=1
	s_waitcnt vmcnt(0)
	v_add_f64 v[9:10], v[11:12], v[16:17]
	global_atomic_cmpswap_x2 v[9:10], v[14:15], v[9:12], off glc
	s_waitcnt vmcnt(0)
	v_cmp_eq_u64_e32 vcc, v[9:10], v[11:12]
	v_mov_b32_e32 v12, v10
	s_or_b64 s[0:1], vcc, s[0:1]
	v_mov_b32_e32 v11, v9
	s_andn2_b64 exec, exec, s[0:1]
	s_cbranch_execnz .LBB86_38
; %bb.39:
	s_or_b64 exec, exec, s[0:1]
	global_load_dwordx2 v[11:12], v[14:15], off offset:8
	v_mul_f64 v[9:10], v[1:2], v[7:8]
	s_mov_b64 s[0:1], 0
	v_fma_f64 v[16:17], v[3:4], v[5:6], v[9:10]
.LBB86_40:                              ; =>This Inner Loop Header: Depth=1
	s_waitcnt vmcnt(0)
	v_add_f64 v[9:10], v[11:12], v[16:17]
	global_atomic_cmpswap_x2 v[9:10], v[14:15], v[9:12], off offset:8 glc
	s_waitcnt vmcnt(0)
	v_cmp_eq_u64_e32 vcc, v[9:10], v[11:12]
	v_mov_b32_e32 v12, v10
	s_or_b64 s[0:1], vcc, s[0:1]
	v_mov_b32_e32 v11, v9
	s_andn2_b64 exec, exec, s[0:1]
	s_cbranch_execnz .LBB86_40
.LBB86_41:
	s_or_b64 exec, exec, s[4:5]
	v_cmp_eq_u32_e32 vcc, s6, v0
	v_cmp_lt_i32_e64 s[0:1], -1, v13
	s_and_b64 s[0:1], vcc, s[0:1]
	s_and_b64 exec, exec, s[0:1]
	s_cbranch_execz .LBB86_46
; %bb.42:
	v_mov_b32_e32 v14, 0
	v_lshlrev_b64 v[9:10], 4, v[13:14]
	v_mov_b32_e32 v0, s3
	v_add_co_u32_e32 v13, vcc, s2, v9
	v_addc_co_u32_e32 v14, vcc, v0, v10, vcc
	global_load_dwordx2 v[11:12], v[13:14], off
	v_mul_f64 v[9:10], v[7:8], -v[3:4]
	s_mov_b64 s[0:1], 0
	v_fma_f64 v[15:16], v[1:2], v[5:6], v[9:10]
.LBB86_43:                              ; =>This Inner Loop Header: Depth=1
	s_waitcnt vmcnt(0)
	v_add_f64 v[9:10], v[11:12], v[15:16]
	global_atomic_cmpswap_x2 v[9:10], v[13:14], v[9:12], off glc
	s_waitcnt vmcnt(0)
	v_cmp_eq_u64_e32 vcc, v[9:10], v[11:12]
	v_mov_b32_e32 v12, v10
	s_or_b64 s[0:1], vcc, s[0:1]
	v_mov_b32_e32 v11, v9
	s_andn2_b64 exec, exec, s[0:1]
	s_cbranch_execnz .LBB86_43
; %bb.44:
	s_or_b64 exec, exec, s[0:1]
	global_load_dwordx2 v[9:10], v[13:14], off offset:8
	v_mul_f64 v[0:1], v[1:2], v[7:8]
	s_mov_b64 s[0:1], 0
	v_fma_f64 v[0:1], v[3:4], v[5:6], v[0:1]
.LBB86_45:                              ; =>This Inner Loop Header: Depth=1
	s_waitcnt vmcnt(0)
	v_add_f64 v[7:8], v[9:10], v[0:1]
	global_atomic_cmpswap_x2 v[2:3], v[13:14], v[7:10], off offset:8 glc
	s_waitcnt vmcnt(0)
	v_cmp_eq_u64_e32 vcc, v[2:3], v[9:10]
	v_mov_b32_e32 v10, v3
	s_or_b64 s[0:1], vcc, s[0:1]
	v_mov_b32_e32 v9, v2
	s_andn2_b64 exec, exec, s[0:1]
	s_cbranch_execnz .LBB86_45
.LBB86_46:
	s_endpgm
	.section	.rodata,"a",@progbits
	.p2align	6, 0x0
	.amdhsa_kernel _ZN9rocsparseL19coomvn_atomic_loopsILj256ELj1Eid21rocsparse_complex_numIdES2_S2_EEvlNS_24const_host_device_scalarIT5_EEPKT1_S8_PKT2_PKT3_PT4_21rocsparse_index_base_b
		.amdhsa_group_segment_fixed_size 5120
		.amdhsa_private_segment_fixed_size 0
		.amdhsa_kernarg_size 72
		.amdhsa_user_sgpr_count 6
		.amdhsa_user_sgpr_private_segment_buffer 1
		.amdhsa_user_sgpr_dispatch_ptr 0
		.amdhsa_user_sgpr_queue_ptr 0
		.amdhsa_user_sgpr_kernarg_segment_ptr 1
		.amdhsa_user_sgpr_dispatch_id 0
		.amdhsa_user_sgpr_flat_scratch_init 0
		.amdhsa_user_sgpr_private_segment_size 0
		.amdhsa_uses_dynamic_stack 0
		.amdhsa_system_sgpr_private_segment_wavefront_offset 0
		.amdhsa_system_sgpr_workgroup_id_x 1
		.amdhsa_system_sgpr_workgroup_id_y 0
		.amdhsa_system_sgpr_workgroup_id_z 0
		.amdhsa_system_sgpr_workgroup_info 0
		.amdhsa_system_vgpr_workitem_id 0
		.amdhsa_next_free_vgpr 18
		.amdhsa_next_free_sgpr 16
		.amdhsa_reserve_vcc 1
		.amdhsa_reserve_flat_scratch 0
		.amdhsa_float_round_mode_32 0
		.amdhsa_float_round_mode_16_64 0
		.amdhsa_float_denorm_mode_32 3
		.amdhsa_float_denorm_mode_16_64 3
		.amdhsa_dx10_clamp 1
		.amdhsa_ieee_mode 1
		.amdhsa_fp16_overflow 0
		.amdhsa_exception_fp_ieee_invalid_op 0
		.amdhsa_exception_fp_denorm_src 0
		.amdhsa_exception_fp_ieee_div_zero 0
		.amdhsa_exception_fp_ieee_overflow 0
		.amdhsa_exception_fp_ieee_underflow 0
		.amdhsa_exception_fp_ieee_inexact 0
		.amdhsa_exception_int_div_zero 0
	.end_amdhsa_kernel
	.section	.text._ZN9rocsparseL19coomvn_atomic_loopsILj256ELj1Eid21rocsparse_complex_numIdES2_S2_EEvlNS_24const_host_device_scalarIT5_EEPKT1_S8_PKT2_PKT3_PT4_21rocsparse_index_base_b,"axG",@progbits,_ZN9rocsparseL19coomvn_atomic_loopsILj256ELj1Eid21rocsparse_complex_numIdES2_S2_EEvlNS_24const_host_device_scalarIT5_EEPKT1_S8_PKT2_PKT3_PT4_21rocsparse_index_base_b,comdat
.Lfunc_end86:
	.size	_ZN9rocsparseL19coomvn_atomic_loopsILj256ELj1Eid21rocsparse_complex_numIdES2_S2_EEvlNS_24const_host_device_scalarIT5_EEPKT1_S8_PKT2_PKT3_PT4_21rocsparse_index_base_b, .Lfunc_end86-_ZN9rocsparseL19coomvn_atomic_loopsILj256ELj1Eid21rocsparse_complex_numIdES2_S2_EEvlNS_24const_host_device_scalarIT5_EEPKT1_S8_PKT2_PKT3_PT4_21rocsparse_index_base_b
                                        ; -- End function
	.set _ZN9rocsparseL19coomvn_atomic_loopsILj256ELj1Eid21rocsparse_complex_numIdES2_S2_EEvlNS_24const_host_device_scalarIT5_EEPKT1_S8_PKT2_PKT3_PT4_21rocsparse_index_base_b.num_vgpr, 18
	.set _ZN9rocsparseL19coomvn_atomic_loopsILj256ELj1Eid21rocsparse_complex_numIdES2_S2_EEvlNS_24const_host_device_scalarIT5_EEPKT1_S8_PKT2_PKT3_PT4_21rocsparse_index_base_b.num_agpr, 0
	.set _ZN9rocsparseL19coomvn_atomic_loopsILj256ELj1Eid21rocsparse_complex_numIdES2_S2_EEvlNS_24const_host_device_scalarIT5_EEPKT1_S8_PKT2_PKT3_PT4_21rocsparse_index_base_b.numbered_sgpr, 16
	.set _ZN9rocsparseL19coomvn_atomic_loopsILj256ELj1Eid21rocsparse_complex_numIdES2_S2_EEvlNS_24const_host_device_scalarIT5_EEPKT1_S8_PKT2_PKT3_PT4_21rocsparse_index_base_b.num_named_barrier, 0
	.set _ZN9rocsparseL19coomvn_atomic_loopsILj256ELj1Eid21rocsparse_complex_numIdES2_S2_EEvlNS_24const_host_device_scalarIT5_EEPKT1_S8_PKT2_PKT3_PT4_21rocsparse_index_base_b.private_seg_size, 0
	.set _ZN9rocsparseL19coomvn_atomic_loopsILj256ELj1Eid21rocsparse_complex_numIdES2_S2_EEvlNS_24const_host_device_scalarIT5_EEPKT1_S8_PKT2_PKT3_PT4_21rocsparse_index_base_b.uses_vcc, 1
	.set _ZN9rocsparseL19coomvn_atomic_loopsILj256ELj1Eid21rocsparse_complex_numIdES2_S2_EEvlNS_24const_host_device_scalarIT5_EEPKT1_S8_PKT2_PKT3_PT4_21rocsparse_index_base_b.uses_flat_scratch, 0
	.set _ZN9rocsparseL19coomvn_atomic_loopsILj256ELj1Eid21rocsparse_complex_numIdES2_S2_EEvlNS_24const_host_device_scalarIT5_EEPKT1_S8_PKT2_PKT3_PT4_21rocsparse_index_base_b.has_dyn_sized_stack, 0
	.set _ZN9rocsparseL19coomvn_atomic_loopsILj256ELj1Eid21rocsparse_complex_numIdES2_S2_EEvlNS_24const_host_device_scalarIT5_EEPKT1_S8_PKT2_PKT3_PT4_21rocsparse_index_base_b.has_recursion, 0
	.set _ZN9rocsparseL19coomvn_atomic_loopsILj256ELj1Eid21rocsparse_complex_numIdES2_S2_EEvlNS_24const_host_device_scalarIT5_EEPKT1_S8_PKT2_PKT3_PT4_21rocsparse_index_base_b.has_indirect_call, 0
	.section	.AMDGPU.csdata,"",@progbits
; Kernel info:
; codeLenInByte = 1644
; TotalNumSgprs: 20
; NumVgprs: 18
; ScratchSize: 0
; MemoryBound: 0
; FloatMode: 240
; IeeeMode: 1
; LDSByteSize: 5120 bytes/workgroup (compile time only)
; SGPRBlocks: 2
; VGPRBlocks: 4
; NumSGPRsForWavesPerEU: 20
; NumVGPRsForWavesPerEU: 18
; Occupancy: 10
; WaveLimiterHint : 1
; COMPUTE_PGM_RSRC2:SCRATCH_EN: 0
; COMPUTE_PGM_RSRC2:USER_SGPR: 6
; COMPUTE_PGM_RSRC2:TRAP_HANDLER: 0
; COMPUTE_PGM_RSRC2:TGID_X_EN: 1
; COMPUTE_PGM_RSRC2:TGID_Y_EN: 0
; COMPUTE_PGM_RSRC2:TGID_Z_EN: 0
; COMPUTE_PGM_RSRC2:TIDIG_COMP_CNT: 0
	.section	.text._ZN9rocsparseL19coomvn_atomic_loopsILj256ELj2Eid21rocsparse_complex_numIdES2_S2_EEvlNS_24const_host_device_scalarIT5_EEPKT1_S8_PKT2_PKT3_PT4_21rocsparse_index_base_b,"axG",@progbits,_ZN9rocsparseL19coomvn_atomic_loopsILj256ELj2Eid21rocsparse_complex_numIdES2_S2_EEvlNS_24const_host_device_scalarIT5_EEPKT1_S8_PKT2_PKT3_PT4_21rocsparse_index_base_b,comdat
	.globl	_ZN9rocsparseL19coomvn_atomic_loopsILj256ELj2Eid21rocsparse_complex_numIdES2_S2_EEvlNS_24const_host_device_scalarIT5_EEPKT1_S8_PKT2_PKT3_PT4_21rocsparse_index_base_b ; -- Begin function _ZN9rocsparseL19coomvn_atomic_loopsILj256ELj2Eid21rocsparse_complex_numIdES2_S2_EEvlNS_24const_host_device_scalarIT5_EEPKT1_S8_PKT2_PKT3_PT4_21rocsparse_index_base_b
	.p2align	8
	.type	_ZN9rocsparseL19coomvn_atomic_loopsILj256ELj2Eid21rocsparse_complex_numIdES2_S2_EEvlNS_24const_host_device_scalarIT5_EEPKT1_S8_PKT2_PKT3_PT4_21rocsparse_index_base_b,@function
_ZN9rocsparseL19coomvn_atomic_loopsILj256ELj2Eid21rocsparse_complex_numIdES2_S2_EEvlNS_24const_host_device_scalarIT5_EEPKT1_S8_PKT2_PKT3_PT4_21rocsparse_index_base_b: ; @_ZN9rocsparseL19coomvn_atomic_loopsILj256ELj2Eid21rocsparse_complex_numIdES2_S2_EEvlNS_24const_host_device_scalarIT5_EEPKT1_S8_PKT2_PKT3_PT4_21rocsparse_index_base_b
; %bb.0:
	s_load_dwordx2 s[34:35], s[4:5], 0x40
	s_load_dwordx4 s[36:39], s[4:5], 0x0
	s_or_b32 s0, s4, 8
	s_waitcnt lgkmcnt(0)
	s_bitcmp1_b32 s35, 0
	s_cselect_b32 s1, s5, s39
	s_cselect_b32 s0, s0, s38
	v_mov_b32_e32 v1, s0
	v_mov_b32_e32 v2, s1
	flat_load_dwordx4 v[1:4], v[1:2]
	s_waitcnt vmcnt(0) lgkmcnt(0)
	v_cmp_neq_f64_e32 vcc, 0, v[1:2]
	v_cmp_neq_f64_e64 s[0:1], 0, v[3:4]
	s_or_b64 s[0:1], vcc, s[0:1]
	s_and_saveexec_b64 s[2:3], s[0:1]
	s_cbranch_execz .LBB87_105
; %bb.1:
	s_load_dwordx8 s[24:31], s[4:5], 0x18
	v_mov_b32_e32 v5, 0
	v_lshl_or_b32 v17, s6, 9, v0
	v_mov_b32_e32 v18, 0
	v_mov_b32_e32 v6, 0
	v_cmp_gt_i64_e32 vcc, s[36:37], v[17:18]
	v_lshlrev_b64 v[13:14], 2, v[17:18]
	v_lshlrev_b64 v[15:16], 3, v[17:18]
	v_mov_b32_e32 v8, v6
	v_mov_b32_e32 v9, -1
	v_mov_b32_e32 v7, v5
	s_and_saveexec_b64 s[0:1], vcc
	s_cbranch_execz .LBB87_3
; %bb.2:
	s_waitcnt lgkmcnt(0)
	v_mov_b32_e32 v6, s27
	v_add_co_u32_e32 v5, vcc, s26, v13
	v_addc_co_u32_e32 v6, vcc, v6, v14, vcc
	global_load_dword v7, v[5:6], off glc slc
	v_mov_b32_e32 v6, s29
	v_add_co_u32_e32 v5, vcc, s28, v15
	v_addc_co_u32_e32 v6, vcc, v6, v16, vcc
	v_mov_b32_e32 v9, s31
	s_mov_b32 s2, 0
	s_brev_b32 s3, 1
	s_waitcnt vmcnt(0)
	v_subrev_u32_e32 v7, s34, v7
	v_ashrrev_i32_e32 v8, 31, v7
	v_lshlrev_b64 v[7:8], 4, v[7:8]
	v_add_co_u32_e32 v11, vcc, s30, v7
	v_addc_co_u32_e32 v12, vcc, v9, v8, vcc
	global_load_dwordx4 v[7:10], v[11:12], off
	global_load_dwordx2 v[18:19], v[5:6], off glc slc
	v_mov_b32_e32 v6, s25
	v_add_co_u32_e32 v5, vcc, s24, v13
	v_addc_co_u32_e32 v6, vcc, v6, v14, vcc
	global_load_dword v11, v[5:6], off glc slc
	s_waitcnt vmcnt(2)
	v_mul_f64 v[5:6], v[9:10], s[2:3]
	s_waitcnt vmcnt(1)
	v_mul_f64 v[9:10], v[18:19], v[9:10]
	v_fma_f64 v[5:6], v[18:19], v[7:8], v[5:6]
	v_fma_f64 v[7:8], v[7:8], 0, v[9:10]
	s_waitcnt vmcnt(0)
	v_subrev_u32_e32 v9, s34, v11
.LBB87_3:
	s_or_b64 exec, exec, s[0:1]
	v_lshlrev_b32_e32 v10, 2, v0
	v_or_b32_e32 v22, 0x1000, v10
	v_lshlrev_b32_e32 v23, 4, v0
	v_cmp_eq_u32_e64 s[18:19], 0, v0
	v_cmp_ne_u32_e64 s[0:1], 0, v0
	v_add_u32_e32 v24, -4, v22
	ds_write_b32 v10, v9 offset:4096
	ds_write_b128 v23, v[5:8]
	s_waitcnt lgkmcnt(0)
	s_barrier
	s_and_saveexec_b64 s[2:3], s[0:1]
	s_cbranch_execz .LBB87_7
; %bb.4:
	ds_read_b32 v10, v24
	s_waitcnt lgkmcnt(0)
	v_cmp_eq_u32_e32 vcc, v9, v10
	s_and_saveexec_b64 s[6:7], vcc
	s_cbranch_execz .LBB87_6
; %bb.5:
	v_add_u32_e32 v10, -16, v23
	ds_read_b128 v[18:21], v10
	s_waitcnt lgkmcnt(0)
	v_add_f64 v[5:6], v[5:6], v[18:19]
	v_add_f64 v[7:8], v[7:8], v[20:21]
.LBB87_6:
	s_or_b64 exec, exec, s[6:7]
.LBB87_7:
	s_or_b64 exec, exec, s[2:3]
	v_cmp_lt_u32_e64 s[2:3], 1, v0
	v_add_u32_e32 v25, -8, v22
	s_barrier
	ds_write_b128 v23, v[5:8]
	s_waitcnt lgkmcnt(0)
	s_barrier
	s_and_saveexec_b64 s[6:7], s[2:3]
	s_cbranch_execz .LBB87_11
; %bb.8:
	ds_read_b32 v10, v25
	s_waitcnt lgkmcnt(0)
	v_cmp_eq_u32_e32 vcc, v9, v10
	s_and_saveexec_b64 s[8:9], vcc
	s_cbranch_execz .LBB87_10
; %bb.9:
	v_subrev_u32_e32 v10, 32, v23
	ds_read_b128 v[18:21], v10
	s_waitcnt lgkmcnt(0)
	v_add_f64 v[5:6], v[5:6], v[18:19]
	v_add_f64 v[7:8], v[7:8], v[20:21]
.LBB87_10:
	s_or_b64 exec, exec, s[8:9]
.LBB87_11:
	s_or_b64 exec, exec, s[6:7]
	v_cmp_lt_u32_e64 s[20:21], 3, v0
	v_add_u32_e32 v26, -16, v22
	s_barrier
	ds_write_b128 v23, v[5:8]
	s_waitcnt lgkmcnt(0)
	s_barrier
	s_and_saveexec_b64 s[6:7], s[20:21]
	s_cbranch_execz .LBB87_15
; %bb.12:
	ds_read_b32 v10, v26
	s_waitcnt lgkmcnt(0)
	v_cmp_eq_u32_e32 vcc, v9, v10
	s_and_saveexec_b64 s[8:9], vcc
	s_cbranch_execz .LBB87_14
; %bb.13:
	v_subrev_u32_e32 v10, 64, v23
	ds_read_b128 v[18:21], v10
	s_waitcnt lgkmcnt(0)
	v_add_f64 v[5:6], v[5:6], v[18:19]
	v_add_f64 v[7:8], v[7:8], v[20:21]
.LBB87_14:
	s_or_b64 exec, exec, s[8:9]
.LBB87_15:
	s_or_b64 exec, exec, s[6:7]
	v_cmp_lt_u32_e64 s[6:7], 7, v0
	v_subrev_u32_e32 v27, 32, v22
	s_barrier
	ds_write_b128 v23, v[5:8]
	s_waitcnt lgkmcnt(0)
	s_barrier
	s_and_saveexec_b64 s[8:9], s[6:7]
	s_cbranch_execz .LBB87_19
; %bb.16:
	ds_read_b32 v10, v27
	s_waitcnt lgkmcnt(0)
	v_cmp_eq_u32_e32 vcc, v9, v10
	s_and_saveexec_b64 s[10:11], vcc
	s_cbranch_execz .LBB87_18
; %bb.17:
	v_add_u32_e32 v10, 0xffffff80, v23
	ds_read_b128 v[18:21], v10
	s_waitcnt lgkmcnt(0)
	v_add_f64 v[5:6], v[5:6], v[18:19]
	v_add_f64 v[7:8], v[7:8], v[20:21]
.LBB87_18:
	s_or_b64 exec, exec, s[10:11]
.LBB87_19:
	s_or_b64 exec, exec, s[8:9]
	v_cmp_lt_u32_e64 s[8:9], 15, v0
	v_subrev_u32_e32 v28, 64, v22
	s_barrier
	ds_write_b128 v23, v[5:8]
	s_waitcnt lgkmcnt(0)
	s_barrier
	s_and_saveexec_b64 s[10:11], s[8:9]
	s_cbranch_execz .LBB87_23
; %bb.20:
	ds_read_b32 v10, v28
	s_waitcnt lgkmcnt(0)
	v_cmp_eq_u32_e32 vcc, v9, v10
	s_and_saveexec_b64 s[12:13], vcc
	s_cbranch_execz .LBB87_22
; %bb.21:
	v_add_u32_e32 v10, 0xffffff00, v23
	ds_read_b128 v[18:21], v10
	s_waitcnt lgkmcnt(0)
	v_add_f64 v[5:6], v[5:6], v[18:19]
	v_add_f64 v[7:8], v[7:8], v[20:21]
.LBB87_22:
	s_or_b64 exec, exec, s[12:13]
.LBB87_23:
	s_or_b64 exec, exec, s[10:11]
	v_cmp_lt_u32_e64 s[10:11], 31, v0
	s_barrier
	ds_write_b128 v23, v[5:8]
	s_waitcnt lgkmcnt(0)
	s_barrier
	s_and_saveexec_b64 s[12:13], s[10:11]
	s_cbranch_execz .LBB87_27
; %bb.24:
	v_add_u32_e32 v10, 0xffffff80, v22
	ds_read_b32 v10, v10
	s_waitcnt lgkmcnt(0)
	v_cmp_eq_u32_e32 vcc, v9, v10
	s_and_saveexec_b64 s[14:15], vcc
	s_cbranch_execz .LBB87_26
; %bb.25:
	v_add_u32_e32 v10, 0xfffffe00, v23
	ds_read_b128 v[18:21], v10
	s_waitcnt lgkmcnt(0)
	v_add_f64 v[5:6], v[5:6], v[18:19]
	v_add_f64 v[7:8], v[7:8], v[20:21]
.LBB87_26:
	s_or_b64 exec, exec, s[14:15]
.LBB87_27:
	s_or_b64 exec, exec, s[12:13]
	v_cmp_lt_u32_e64 s[12:13], 63, v0
	s_barrier
	ds_write_b128 v23, v[5:8]
	s_waitcnt lgkmcnt(0)
	s_barrier
	s_and_saveexec_b64 s[14:15], s[12:13]
	s_cbranch_execz .LBB87_31
; %bb.28:
	v_add_u32_e32 v10, 0xffffff00, v22
	ds_read_b32 v10, v10
	s_waitcnt lgkmcnt(0)
	v_cmp_eq_u32_e32 vcc, v9, v10
	s_and_saveexec_b64 s[16:17], vcc
	s_cbranch_execz .LBB87_30
; %bb.29:
	v_add_u32_e32 v10, 0xfffffc00, v23
	ds_read_b128 v[18:21], v10
	s_waitcnt lgkmcnt(0)
	v_add_f64 v[5:6], v[5:6], v[18:19]
	v_add_f64 v[7:8], v[7:8], v[20:21]
.LBB87_30:
	s_or_b64 exec, exec, s[16:17]
.LBB87_31:
	s_or_b64 exec, exec, s[14:15]
	s_load_dwordx2 s[22:23], s[4:5], 0x38
	s_movk_i32 s4, 0x7f
	v_cmp_lt_u32_e64 s[14:15], s4, v0
	s_waitcnt lgkmcnt(0)
	s_barrier
	ds_write_b128 v23, v[5:8]
	s_waitcnt lgkmcnt(0)
	s_barrier
	s_and_saveexec_b64 s[4:5], s[14:15]
	s_cbranch_execz .LBB87_35
; %bb.32:
	v_add_u32_e32 v10, 0xfffffe00, v22
	ds_read_b32 v10, v10
	s_waitcnt lgkmcnt(0)
	v_cmp_eq_u32_e32 vcc, v9, v10
	s_and_saveexec_b64 s[16:17], vcc
	s_cbranch_execz .LBB87_34
; %bb.33:
	v_add_u32_e32 v10, 0xfffff800, v23
	ds_read_b128 v[18:21], v10
	s_waitcnt lgkmcnt(0)
	v_add_f64 v[5:6], v[5:6], v[18:19]
	v_add_f64 v[7:8], v[7:8], v[20:21]
.LBB87_34:
	s_or_b64 exec, exec, s[16:17]
.LBB87_35:
	s_or_b64 exec, exec, s[4:5]
	s_movk_i32 s4, 0xff
	v_cmp_gt_u32_e64 s[16:17], s4, v0
	s_barrier
	ds_write_b128 v23, v[5:8]
	s_waitcnt lgkmcnt(0)
	s_barrier
	s_and_saveexec_b64 s[38:39], s[16:17]
	s_cbranch_execz .LBB87_41
; %bb.36:
	ds_read_b32 v10, v22 offset:4
	v_cmp_lt_i32_e64 s[4:5], -1, v9
	s_waitcnt lgkmcnt(0)
	v_cmp_ne_u32_e32 vcc, v9, v10
	s_and_b64 s[4:5], s[4:5], vcc
	s_and_b64 exec, exec, s[4:5]
	s_cbranch_execz .LBB87_41
; %bb.37:
	v_mov_b32_e32 v10, 0
	v_lshlrev_b64 v[9:10], 4, v[9:10]
	v_mov_b32_e32 v11, s23
	v_add_co_u32_e32 v18, vcc, s22, v9
	v_addc_co_u32_e32 v19, vcc, v11, v10, vcc
	global_load_dwordx2 v[11:12], v[18:19], off
	v_mul_f64 v[9:10], v[7:8], -v[3:4]
	s_mov_b64 s[4:5], 0
	v_fma_f64 v[20:21], v[1:2], v[5:6], v[9:10]
.LBB87_38:                              ; =>This Inner Loop Header: Depth=1
	s_waitcnt vmcnt(0)
	v_add_f64 v[9:10], v[11:12], v[20:21]
	global_atomic_cmpswap_x2 v[9:10], v[18:19], v[9:12], off glc
	s_waitcnt vmcnt(0)
	v_cmp_eq_u64_e32 vcc, v[9:10], v[11:12]
	v_mov_b32_e32 v12, v10
	s_or_b64 s[4:5], vcc, s[4:5]
	v_mov_b32_e32 v11, v9
	s_andn2_b64 exec, exec, s[4:5]
	s_cbranch_execnz .LBB87_38
; %bb.39:
	s_or_b64 exec, exec, s[4:5]
	global_load_dwordx2 v[9:10], v[18:19], off offset:8
	v_mul_f64 v[7:8], v[1:2], v[7:8]
	s_mov_b64 s[4:5], 0
	v_fma_f64 v[5:6], v[3:4], v[5:6], v[7:8]
.LBB87_40:                              ; =>This Inner Loop Header: Depth=1
	s_waitcnt vmcnt(0)
	v_add_f64 v[7:8], v[9:10], v[5:6]
	global_atomic_cmpswap_x2 v[7:8], v[18:19], v[7:10], off offset:8 glc
	s_waitcnt vmcnt(0)
	v_cmp_eq_u64_e32 vcc, v[7:8], v[9:10]
	v_mov_b32_e32 v10, v8
	s_or_b64 s[4:5], vcc, s[4:5]
	v_mov_b32_e32 v9, v7
	s_andn2_b64 exec, exec, s[4:5]
	s_cbranch_execnz .LBB87_40
.LBB87_41:
	s_or_b64 exec, exec, s[38:39]
	v_add_co_u32_e32 v5, vcc, 0x100, v17
	v_addc_co_u32_e64 v6, s[4:5], 0, 0, vcc
	v_cmp_gt_i64_e32 vcc, s[36:37], v[5:6]
	v_mov_b32_e32 v5, 0
	v_mov_b32_e32 v7, 0
	;; [unrolled: 1-line block ×4, first 2 shown]
	v_mov_b32_e32 v17, -1
	s_and_saveexec_b64 s[4:5], vcc
	s_cbranch_execz .LBB87_43
; %bb.42:
	v_mov_b32_e32 v6, s27
	v_add_co_u32_e32 v5, vcc, s26, v13
	v_addc_co_u32_e32 v6, vcc, v6, v14, vcc
	global_load_dword v7, v[5:6], off offset:1024 glc slc
	v_mov_b32_e32 v6, s29
	v_add_co_u32_e32 v5, vcc, s28, v15
	v_addc_co_u32_e32 v6, vcc, v6, v16, vcc
	v_mov_b32_e32 v9, s31
	s_waitcnt vmcnt(0)
	v_subrev_u32_e32 v7, s34, v7
	v_ashrrev_i32_e32 v8, 31, v7
	v_lshlrev_b64 v[7:8], 4, v[7:8]
	v_add_co_u32_e32 v11, vcc, s30, v7
	v_addc_co_u32_e32 v12, vcc, v9, v8, vcc
	global_load_dwordx4 v[7:10], v[11:12], off
	global_load_dwordx2 v[15:16], v[5:6], off offset:2048 glc slc
	v_mov_b32_e32 v6, s25
	v_add_co_u32_e32 v5, vcc, s24, v13
	v_addc_co_u32_e32 v6, vcc, v6, v14, vcc
	global_load_dword v11, v[5:6], off offset:1024 glc slc
	s_mov_b32 s24, 0
	s_brev_b32 s25, 1
	s_waitcnt vmcnt(2)
	v_mul_f64 v[5:6], v[9:10], s[24:25]
	s_waitcnt vmcnt(1)
	v_mul_f64 v[9:10], v[15:16], v[9:10]
	s_waitcnt vmcnt(0)
	v_subrev_u32_e32 v17, s34, v11
	v_fma_f64 v[5:6], v[15:16], v[7:8], v[5:6]
	v_fma_f64 v[7:8], v[7:8], 0, v[9:10]
.LBB87_43:
	s_or_b64 exec, exec, s[4:5]
	s_and_saveexec_b64 s[4:5], s[18:19]
	s_cbranch_execz .LBB87_62
; %bb.44:
	v_mov_b32_e32 v9, 0
	ds_read_b32 v9, v9 offset:5116
	s_waitcnt lgkmcnt(0)
	v_readfirstlane_b32 s24, v9
	v_cmp_ne_u32_e32 vcc, v17, v9
	s_and_saveexec_b64 s[18:19], vcc
	s_xor_b64 s[18:19], exec, s[18:19]
	s_cbranch_execz .LBB87_59
; %bb.45:
	s_cmp_lt_i32 s24, 0
	s_cbranch_scc1 .LBB87_59
; %bb.46:
	v_mov_b32_e32 v9, 0
	ds_read_b128 v[9:12], v9 offset:4080
	v_mov_b32_e32 v18, 0
	s_mov_b64 s[26:27], exec
	v_bfrev_b32_e32 v19, 1
	s_waitcnt lgkmcnt(0)
	v_mul_f64 v[13:14], v[11:12], -v[3:4]
	v_fma_f64 v[13:14], v[1:2], v[9:10], v[13:14]
.LBB87_47:                              ; =>This Inner Loop Header: Depth=1
	s_ff1_i32_b64 s25, s[26:27]
	v_readlane_b32 s29, v14, s25
	v_readlane_b32 s28, v13, s25
	v_add_f64 v[18:19], v[18:19], s[28:29]
	s_lshl_b64 s[28:29], 1, s25
	s_andn2_b64 s[26:27], s[26:27], s[28:29]
	s_cmp_lg_u64 s[26:27], 0
	s_cbranch_scc1 .LBB87_47
; %bb.48:
	s_mov_b32 s25, 0
	s_lshl_b64 s[24:25], s[24:25], 4
	v_mbcnt_lo_u32_b32 v13, exec_lo, 0
	s_add_u32 s24, s22, s24
	v_mbcnt_hi_u32_b32 v13, exec_hi, v13
	s_addc_u32 s25, s23, s25
	v_cmp_eq_u32_e32 vcc, 0, v13
	s_and_saveexec_b64 s[26:27], vcc
	s_xor_b64 s[26:27], exec, s[26:27]
	s_cbranch_execz .LBB87_52
; %bb.49:
	v_mov_b32_e32 v20, 0
	global_load_dwordx2 v[15:16], v20, s[24:25]
	s_mov_b64 s[28:29], 0
.LBB87_50:                              ; =>This Inner Loop Header: Depth=1
	s_waitcnt vmcnt(0)
	v_add_f64 v[13:14], v[15:16], v[18:19]
	global_atomic_cmpswap_x2 v[13:14], v20, v[13:16], s[24:25] glc
	s_waitcnt vmcnt(0)
	v_cmp_eq_u64_e32 vcc, v[13:14], v[15:16]
	v_mov_b32_e32 v16, v14
	s_or_b64 s[28:29], vcc, s[28:29]
	v_mov_b32_e32 v15, v13
	s_andn2_b64 exec, exec, s[28:29]
	s_cbranch_execnz .LBB87_50
; %bb.51:
	s_or_b64 exec, exec, s[28:29]
.LBB87_52:
	s_or_b64 exec, exec, s[26:27]
	v_mul_f64 v[11:12], v[1:2], v[11:12]
	v_mov_b32_e32 v13, 0
	s_mov_b64 s[26:27], exec
	v_bfrev_b32_e32 v14, 1
	v_fma_f64 v[9:10], v[3:4], v[9:10], v[11:12]
.LBB87_53:                              ; =>This Inner Loop Header: Depth=1
	s_ff1_i32_b64 s30, s[26:27]
	v_readlane_b32 s29, v10, s30
	v_readlane_b32 s28, v9, s30
	v_add_f64 v[13:14], v[13:14], s[28:29]
	s_lshl_b64 s[28:29], 1, s30
	s_andn2_b64 s[26:27], s[26:27], s[28:29]
	s_cmp_lg_u64 s[26:27], 0
	s_cbranch_scc1 .LBB87_53
; %bb.54:
	v_mbcnt_lo_u32_b32 v9, exec_lo, 0
	v_mbcnt_hi_u32_b32 v9, exec_hi, v9
	v_cmp_eq_u32_e32 vcc, 0, v9
	s_and_saveexec_b64 s[26:27], vcc
	s_xor_b64 s[26:27], exec, s[26:27]
	s_cbranch_execz .LBB87_58
; %bb.55:
	v_mov_b32_e32 v15, 0
	global_load_dwordx2 v[11:12], v15, s[24:25] offset:8
	s_mov_b64 s[28:29], 0
.LBB87_56:                              ; =>This Inner Loop Header: Depth=1
	s_waitcnt vmcnt(0)
	v_add_f64 v[9:10], v[11:12], v[13:14]
	global_atomic_cmpswap_x2 v[9:10], v15, v[9:12], s[24:25] offset:8 glc
	s_waitcnt vmcnt(0)
	v_cmp_eq_u64_e32 vcc, v[9:10], v[11:12]
	v_mov_b32_e32 v12, v10
	s_or_b64 s[28:29], vcc, s[28:29]
	v_mov_b32_e32 v11, v9
	s_andn2_b64 exec, exec, s[28:29]
	s_cbranch_execnz .LBB87_56
; %bb.57:
	s_or_b64 exec, exec, s[28:29]
.LBB87_58:
	s_or_b64 exec, exec, s[26:27]
.LBB87_59:
	s_andn2_saveexec_b64 s[18:19], s[18:19]
	s_cbranch_execz .LBB87_61
; %bb.60:
	v_mov_b32_e32 v9, 0
	ds_read_b128 v[9:12], v9 offset:4080
	s_waitcnt lgkmcnt(0)
	v_add_f64 v[5:6], v[5:6], v[9:10]
	v_add_f64 v[7:8], v[7:8], v[11:12]
.LBB87_61:
	s_or_b64 exec, exec, s[18:19]
.LBB87_62:
	s_or_b64 exec, exec, s[4:5]
	s_barrier
	ds_write_b32 v22, v17
	ds_write_b128 v23, v[5:8]
	s_waitcnt lgkmcnt(0)
	s_barrier
	s_and_saveexec_b64 s[4:5], s[0:1]
	s_cbranch_execz .LBB87_66
; %bb.63:
	ds_read_b32 v9, v24
	s_waitcnt lgkmcnt(0)
	v_cmp_eq_u32_e32 vcc, v17, v9
	s_and_saveexec_b64 s[0:1], vcc
	s_cbranch_execz .LBB87_65
; %bb.64:
	v_add_u32_e32 v9, -16, v23
	ds_read_b128 v[9:12], v9
	s_waitcnt lgkmcnt(0)
	v_add_f64 v[5:6], v[5:6], v[9:10]
	v_add_f64 v[7:8], v[7:8], v[11:12]
.LBB87_65:
	s_or_b64 exec, exec, s[0:1]
.LBB87_66:
	s_or_b64 exec, exec, s[4:5]
	s_barrier
	ds_write_b128 v23, v[5:8]
	s_waitcnt lgkmcnt(0)
	s_barrier
	s_and_saveexec_b64 s[0:1], s[2:3]
	s_cbranch_execz .LBB87_70
; %bb.67:
	ds_read_b32 v9, v25
	s_waitcnt lgkmcnt(0)
	v_cmp_eq_u32_e32 vcc, v17, v9
	s_and_saveexec_b64 s[2:3], vcc
	s_cbranch_execz .LBB87_69
; %bb.68:
	v_subrev_u32_e32 v9, 32, v23
	ds_read_b128 v[9:12], v9
	s_waitcnt lgkmcnt(0)
	v_add_f64 v[5:6], v[5:6], v[9:10]
	v_add_f64 v[7:8], v[7:8], v[11:12]
.LBB87_69:
	s_or_b64 exec, exec, s[2:3]
.LBB87_70:
	s_or_b64 exec, exec, s[0:1]
	s_barrier
	ds_write_b128 v23, v[5:8]
	s_waitcnt lgkmcnt(0)
	s_barrier
	s_and_saveexec_b64 s[0:1], s[20:21]
	s_cbranch_execz .LBB87_74
; %bb.71:
	ds_read_b32 v9, v26
	s_waitcnt lgkmcnt(0)
	v_cmp_eq_u32_e32 vcc, v17, v9
	s_and_saveexec_b64 s[2:3], vcc
	s_cbranch_execz .LBB87_73
; %bb.72:
	v_subrev_u32_e32 v9, 64, v23
	ds_read_b128 v[9:12], v9
	s_waitcnt lgkmcnt(0)
	v_add_f64 v[5:6], v[5:6], v[9:10]
	v_add_f64 v[7:8], v[7:8], v[11:12]
.LBB87_73:
	s_or_b64 exec, exec, s[2:3]
.LBB87_74:
	s_or_b64 exec, exec, s[0:1]
	s_barrier
	ds_write_b128 v23, v[5:8]
	s_waitcnt lgkmcnt(0)
	s_barrier
	s_and_saveexec_b64 s[0:1], s[6:7]
	s_cbranch_execz .LBB87_78
; %bb.75:
	ds_read_b32 v9, v27
	s_waitcnt lgkmcnt(0)
	v_cmp_eq_u32_e32 vcc, v17, v9
	s_and_saveexec_b64 s[2:3], vcc
	s_cbranch_execz .LBB87_77
; %bb.76:
	v_add_u32_e32 v9, 0xffffff80, v23
	ds_read_b128 v[9:12], v9
	s_waitcnt lgkmcnt(0)
	v_add_f64 v[5:6], v[5:6], v[9:10]
	v_add_f64 v[7:8], v[7:8], v[11:12]
.LBB87_77:
	s_or_b64 exec, exec, s[2:3]
.LBB87_78:
	s_or_b64 exec, exec, s[0:1]
	s_barrier
	ds_write_b128 v23, v[5:8]
	s_waitcnt lgkmcnt(0)
	s_barrier
	s_and_saveexec_b64 s[0:1], s[8:9]
	s_cbranch_execz .LBB87_82
; %bb.79:
	ds_read_b32 v9, v28
	s_waitcnt lgkmcnt(0)
	v_cmp_eq_u32_e32 vcc, v17, v9
	s_and_saveexec_b64 s[2:3], vcc
	s_cbranch_execz .LBB87_81
; %bb.80:
	v_add_u32_e32 v9, 0xffffff00, v23
	ds_read_b128 v[9:12], v9
	s_waitcnt lgkmcnt(0)
	v_add_f64 v[5:6], v[5:6], v[9:10]
	v_add_f64 v[7:8], v[7:8], v[11:12]
.LBB87_81:
	s_or_b64 exec, exec, s[2:3]
.LBB87_82:
	s_or_b64 exec, exec, s[0:1]
	s_barrier
	ds_write_b128 v23, v[5:8]
	s_waitcnt lgkmcnt(0)
	s_barrier
	s_and_saveexec_b64 s[0:1], s[10:11]
	s_cbranch_execz .LBB87_86
; %bb.83:
	v_add_u32_e32 v9, 0xffffff80, v22
	ds_read_b32 v9, v9
	s_waitcnt lgkmcnt(0)
	v_cmp_eq_u32_e32 vcc, v17, v9
	s_and_saveexec_b64 s[2:3], vcc
	s_cbranch_execz .LBB87_85
; %bb.84:
	v_add_u32_e32 v9, 0xfffffe00, v23
	ds_read_b128 v[9:12], v9
	s_waitcnt lgkmcnt(0)
	v_add_f64 v[5:6], v[5:6], v[9:10]
	v_add_f64 v[7:8], v[7:8], v[11:12]
.LBB87_85:
	s_or_b64 exec, exec, s[2:3]
.LBB87_86:
	s_or_b64 exec, exec, s[0:1]
	s_barrier
	ds_write_b128 v23, v[5:8]
	s_waitcnt lgkmcnt(0)
	s_barrier
	s_and_saveexec_b64 s[0:1], s[12:13]
	s_cbranch_execz .LBB87_90
; %bb.87:
	v_add_u32_e32 v9, 0xffffff00, v22
	ds_read_b32 v9, v9
	s_waitcnt lgkmcnt(0)
	v_cmp_eq_u32_e32 vcc, v17, v9
	s_and_saveexec_b64 s[2:3], vcc
	s_cbranch_execz .LBB87_89
; %bb.88:
	v_add_u32_e32 v9, 0xfffffc00, v23
	ds_read_b128 v[9:12], v9
	s_waitcnt lgkmcnt(0)
	v_add_f64 v[5:6], v[5:6], v[9:10]
	v_add_f64 v[7:8], v[7:8], v[11:12]
.LBB87_89:
	s_or_b64 exec, exec, s[2:3]
.LBB87_90:
	;; [unrolled: 23-line block ×3, first 2 shown]
	s_or_b64 exec, exec, s[0:1]
	s_barrier
	ds_write_b128 v23, v[5:8]
	s_waitcnt lgkmcnt(0)
	s_barrier
	s_and_saveexec_b64 s[2:3], s[16:17]
	s_cbranch_execz .LBB87_100
; %bb.95:
	ds_read_b32 v9, v22 offset:4
	v_cmp_lt_i32_e64 s[0:1], -1, v17
	s_waitcnt lgkmcnt(0)
	v_cmp_ne_u32_e32 vcc, v17, v9
	s_and_b64 s[0:1], s[0:1], vcc
	s_and_b64 exec, exec, s[0:1]
	s_cbranch_execz .LBB87_100
; %bb.96:
	v_mov_b32_e32 v18, 0
	v_lshlrev_b64 v[9:10], 4, v[17:18]
	v_mov_b32_e32 v11, s23
	v_add_co_u32_e32 v13, vcc, s22, v9
	v_addc_co_u32_e32 v14, vcc, v11, v10, vcc
	global_load_dwordx2 v[11:12], v[13:14], off
	v_mul_f64 v[9:10], v[7:8], -v[3:4]
	s_mov_b64 s[0:1], 0
	v_fma_f64 v[15:16], v[1:2], v[5:6], v[9:10]
.LBB87_97:                              ; =>This Inner Loop Header: Depth=1
	s_waitcnt vmcnt(0)
	v_add_f64 v[9:10], v[11:12], v[15:16]
	global_atomic_cmpswap_x2 v[9:10], v[13:14], v[9:12], off glc
	s_waitcnt vmcnt(0)
	v_cmp_eq_u64_e32 vcc, v[9:10], v[11:12]
	v_mov_b32_e32 v12, v10
	s_or_b64 s[0:1], vcc, s[0:1]
	v_mov_b32_e32 v11, v9
	s_andn2_b64 exec, exec, s[0:1]
	s_cbranch_execnz .LBB87_97
; %bb.98:
	s_or_b64 exec, exec, s[0:1]
	global_load_dwordx2 v[11:12], v[13:14], off offset:8
	v_mul_f64 v[9:10], v[1:2], v[7:8]
	s_mov_b64 s[0:1], 0
	v_fma_f64 v[15:16], v[3:4], v[5:6], v[9:10]
.LBB87_99:                              ; =>This Inner Loop Header: Depth=1
	s_waitcnt vmcnt(0)
	v_add_f64 v[9:10], v[11:12], v[15:16]
	global_atomic_cmpswap_x2 v[9:10], v[13:14], v[9:12], off offset:8 glc
	s_waitcnt vmcnt(0)
	v_cmp_eq_u64_e32 vcc, v[9:10], v[11:12]
	v_mov_b32_e32 v12, v10
	s_or_b64 s[0:1], vcc, s[0:1]
	v_mov_b32_e32 v11, v9
	s_andn2_b64 exec, exec, s[0:1]
	s_cbranch_execnz .LBB87_99
.LBB87_100:
	s_or_b64 exec, exec, s[2:3]
	s_movk_i32 s0, 0xff
	v_cmp_eq_u32_e32 vcc, s0, v0
	v_cmp_lt_i32_e64 s[0:1], -1, v17
	s_and_b64 s[0:1], vcc, s[0:1]
	s_and_b64 exec, exec, s[0:1]
	s_cbranch_execz .LBB87_105
; %bb.101:
	v_mov_b32_e32 v18, 0
	v_lshlrev_b64 v[9:10], 4, v[17:18]
	v_mov_b32_e32 v0, s23
	v_add_co_u32_e32 v13, vcc, s22, v9
	v_addc_co_u32_e32 v14, vcc, v0, v10, vcc
	global_load_dwordx2 v[11:12], v[13:14], off
	v_mul_f64 v[9:10], v[7:8], -v[3:4]
	s_mov_b64 s[0:1], 0
	v_fma_f64 v[15:16], v[1:2], v[5:6], v[9:10]
.LBB87_102:                             ; =>This Inner Loop Header: Depth=1
	s_waitcnt vmcnt(0)
	v_add_f64 v[9:10], v[11:12], v[15:16]
	global_atomic_cmpswap_x2 v[9:10], v[13:14], v[9:12], off glc
	s_waitcnt vmcnt(0)
	v_cmp_eq_u64_e32 vcc, v[9:10], v[11:12]
	v_mov_b32_e32 v12, v10
	s_or_b64 s[0:1], vcc, s[0:1]
	v_mov_b32_e32 v11, v9
	s_andn2_b64 exec, exec, s[0:1]
	s_cbranch_execnz .LBB87_102
; %bb.103:
	s_or_b64 exec, exec, s[0:1]
	global_load_dwordx2 v[9:10], v[13:14], off offset:8
	v_mul_f64 v[0:1], v[1:2], v[7:8]
	s_mov_b64 s[0:1], 0
	v_fma_f64 v[0:1], v[3:4], v[5:6], v[0:1]
.LBB87_104:                             ; =>This Inner Loop Header: Depth=1
	s_waitcnt vmcnt(0)
	v_add_f64 v[7:8], v[9:10], v[0:1]
	global_atomic_cmpswap_x2 v[2:3], v[13:14], v[7:10], off offset:8 glc
	s_waitcnt vmcnt(0)
	v_cmp_eq_u64_e32 vcc, v[2:3], v[9:10]
	v_mov_b32_e32 v10, v3
	s_or_b64 s[0:1], vcc, s[0:1]
	v_mov_b32_e32 v9, v2
	s_andn2_b64 exec, exec, s[0:1]
	s_cbranch_execnz .LBB87_104
.LBB87_105:
	s_endpgm
	.section	.rodata,"a",@progbits
	.p2align	6, 0x0
	.amdhsa_kernel _ZN9rocsparseL19coomvn_atomic_loopsILj256ELj2Eid21rocsparse_complex_numIdES2_S2_EEvlNS_24const_host_device_scalarIT5_EEPKT1_S8_PKT2_PKT3_PT4_21rocsparse_index_base_b
		.amdhsa_group_segment_fixed_size 5120
		.amdhsa_private_segment_fixed_size 0
		.amdhsa_kernarg_size 72
		.amdhsa_user_sgpr_count 6
		.amdhsa_user_sgpr_private_segment_buffer 1
		.amdhsa_user_sgpr_dispatch_ptr 0
		.amdhsa_user_sgpr_queue_ptr 0
		.amdhsa_user_sgpr_kernarg_segment_ptr 1
		.amdhsa_user_sgpr_dispatch_id 0
		.amdhsa_user_sgpr_flat_scratch_init 0
		.amdhsa_user_sgpr_private_segment_size 0
		.amdhsa_uses_dynamic_stack 0
		.amdhsa_system_sgpr_private_segment_wavefront_offset 0
		.amdhsa_system_sgpr_workgroup_id_x 1
		.amdhsa_system_sgpr_workgroup_id_y 0
		.amdhsa_system_sgpr_workgroup_id_z 0
		.amdhsa_system_sgpr_workgroup_info 0
		.amdhsa_system_vgpr_workitem_id 0
		.amdhsa_next_free_vgpr 29
		.amdhsa_next_free_sgpr 40
		.amdhsa_reserve_vcc 1
		.amdhsa_reserve_flat_scratch 0
		.amdhsa_float_round_mode_32 0
		.amdhsa_float_round_mode_16_64 0
		.amdhsa_float_denorm_mode_32 3
		.amdhsa_float_denorm_mode_16_64 3
		.amdhsa_dx10_clamp 1
		.amdhsa_ieee_mode 1
		.amdhsa_fp16_overflow 0
		.amdhsa_exception_fp_ieee_invalid_op 0
		.amdhsa_exception_fp_denorm_src 0
		.amdhsa_exception_fp_ieee_div_zero 0
		.amdhsa_exception_fp_ieee_overflow 0
		.amdhsa_exception_fp_ieee_underflow 0
		.amdhsa_exception_fp_ieee_inexact 0
		.amdhsa_exception_int_div_zero 0
	.end_amdhsa_kernel
	.section	.text._ZN9rocsparseL19coomvn_atomic_loopsILj256ELj2Eid21rocsparse_complex_numIdES2_S2_EEvlNS_24const_host_device_scalarIT5_EEPKT1_S8_PKT2_PKT3_PT4_21rocsparse_index_base_b,"axG",@progbits,_ZN9rocsparseL19coomvn_atomic_loopsILj256ELj2Eid21rocsparse_complex_numIdES2_S2_EEvlNS_24const_host_device_scalarIT5_EEPKT1_S8_PKT2_PKT3_PT4_21rocsparse_index_base_b,comdat
.Lfunc_end87:
	.size	_ZN9rocsparseL19coomvn_atomic_loopsILj256ELj2Eid21rocsparse_complex_numIdES2_S2_EEvlNS_24const_host_device_scalarIT5_EEPKT1_S8_PKT2_PKT3_PT4_21rocsparse_index_base_b, .Lfunc_end87-_ZN9rocsparseL19coomvn_atomic_loopsILj256ELj2Eid21rocsparse_complex_numIdES2_S2_EEvlNS_24const_host_device_scalarIT5_EEPKT1_S8_PKT2_PKT3_PT4_21rocsparse_index_base_b
                                        ; -- End function
	.set _ZN9rocsparseL19coomvn_atomic_loopsILj256ELj2Eid21rocsparse_complex_numIdES2_S2_EEvlNS_24const_host_device_scalarIT5_EEPKT1_S8_PKT2_PKT3_PT4_21rocsparse_index_base_b.num_vgpr, 29
	.set _ZN9rocsparseL19coomvn_atomic_loopsILj256ELj2Eid21rocsparse_complex_numIdES2_S2_EEvlNS_24const_host_device_scalarIT5_EEPKT1_S8_PKT2_PKT3_PT4_21rocsparse_index_base_b.num_agpr, 0
	.set _ZN9rocsparseL19coomvn_atomic_loopsILj256ELj2Eid21rocsparse_complex_numIdES2_S2_EEvlNS_24const_host_device_scalarIT5_EEPKT1_S8_PKT2_PKT3_PT4_21rocsparse_index_base_b.numbered_sgpr, 40
	.set _ZN9rocsparseL19coomvn_atomic_loopsILj256ELj2Eid21rocsparse_complex_numIdES2_S2_EEvlNS_24const_host_device_scalarIT5_EEPKT1_S8_PKT2_PKT3_PT4_21rocsparse_index_base_b.num_named_barrier, 0
	.set _ZN9rocsparseL19coomvn_atomic_loopsILj256ELj2Eid21rocsparse_complex_numIdES2_S2_EEvlNS_24const_host_device_scalarIT5_EEPKT1_S8_PKT2_PKT3_PT4_21rocsparse_index_base_b.private_seg_size, 0
	.set _ZN9rocsparseL19coomvn_atomic_loopsILj256ELj2Eid21rocsparse_complex_numIdES2_S2_EEvlNS_24const_host_device_scalarIT5_EEPKT1_S8_PKT2_PKT3_PT4_21rocsparse_index_base_b.uses_vcc, 1
	.set _ZN9rocsparseL19coomvn_atomic_loopsILj256ELj2Eid21rocsparse_complex_numIdES2_S2_EEvlNS_24const_host_device_scalarIT5_EEPKT1_S8_PKT2_PKT3_PT4_21rocsparse_index_base_b.uses_flat_scratch, 0
	.set _ZN9rocsparseL19coomvn_atomic_loopsILj256ELj2Eid21rocsparse_complex_numIdES2_S2_EEvlNS_24const_host_device_scalarIT5_EEPKT1_S8_PKT2_PKT3_PT4_21rocsparse_index_base_b.has_dyn_sized_stack, 0
	.set _ZN9rocsparseL19coomvn_atomic_loopsILj256ELj2Eid21rocsparse_complex_numIdES2_S2_EEvlNS_24const_host_device_scalarIT5_EEPKT1_S8_PKT2_PKT3_PT4_21rocsparse_index_base_b.has_recursion, 0
	.set _ZN9rocsparseL19coomvn_atomic_loopsILj256ELj2Eid21rocsparse_complex_numIdES2_S2_EEvlNS_24const_host_device_scalarIT5_EEPKT1_S8_PKT2_PKT3_PT4_21rocsparse_index_base_b.has_indirect_call, 0
	.section	.AMDGPU.csdata,"",@progbits
; Kernel info:
; codeLenInByte = 3420
; TotalNumSgprs: 44
; NumVgprs: 29
; ScratchSize: 0
; MemoryBound: 0
; FloatMode: 240
; IeeeMode: 1
; LDSByteSize: 5120 bytes/workgroup (compile time only)
; SGPRBlocks: 5
; VGPRBlocks: 7
; NumSGPRsForWavesPerEU: 44
; NumVGPRsForWavesPerEU: 29
; Occupancy: 8
; WaveLimiterHint : 1
; COMPUTE_PGM_RSRC2:SCRATCH_EN: 0
; COMPUTE_PGM_RSRC2:USER_SGPR: 6
; COMPUTE_PGM_RSRC2:TRAP_HANDLER: 0
; COMPUTE_PGM_RSRC2:TGID_X_EN: 1
; COMPUTE_PGM_RSRC2:TGID_Y_EN: 0
; COMPUTE_PGM_RSRC2:TGID_Z_EN: 0
; COMPUTE_PGM_RSRC2:TIDIG_COMP_CNT: 0
	.section	.text._ZN9rocsparseL22coomvn_segmented_loopsILj256Eld21rocsparse_complex_numIdES2_S2_EEvlT0_NS_24const_host_device_scalarIT4_EEPKS3_S8_PKT1_PKT2_PT3_PS3_PS5_21rocsparse_index_base_b,"axG",@progbits,_ZN9rocsparseL22coomvn_segmented_loopsILj256Eld21rocsparse_complex_numIdES2_S2_EEvlT0_NS_24const_host_device_scalarIT4_EEPKS3_S8_PKT1_PKT2_PT3_PS3_PS5_21rocsparse_index_base_b,comdat
	.globl	_ZN9rocsparseL22coomvn_segmented_loopsILj256Eld21rocsparse_complex_numIdES2_S2_EEvlT0_NS_24const_host_device_scalarIT4_EEPKS3_S8_PKT1_PKT2_PT3_PS3_PS5_21rocsparse_index_base_b ; -- Begin function _ZN9rocsparseL22coomvn_segmented_loopsILj256Eld21rocsparse_complex_numIdES2_S2_EEvlT0_NS_24const_host_device_scalarIT4_EEPKS3_S8_PKT1_PKT2_PT3_PS3_PS5_21rocsparse_index_base_b
	.p2align	8
	.type	_ZN9rocsparseL22coomvn_segmented_loopsILj256Eld21rocsparse_complex_numIdES2_S2_EEvlT0_NS_24const_host_device_scalarIT4_EEPKS3_S8_PKT1_PKT2_PT3_PS3_PS5_21rocsparse_index_base_b,@function
_ZN9rocsparseL22coomvn_segmented_loopsILj256Eld21rocsparse_complex_numIdES2_S2_EEvlT0_NS_24const_host_device_scalarIT4_EEPKS3_S8_PKT1_PKT2_PT3_PS3_PS5_21rocsparse_index_base_b: ; @_ZN9rocsparseL22coomvn_segmented_loopsILj256Eld21rocsparse_complex_numIdES2_S2_EEvlT0_NS_24const_host_device_scalarIT4_EEPKS3_S8_PKT1_PKT2_PT3_PS3_PS5_21rocsparse_index_base_b
; %bb.0:
	s_load_dwordx2 s[34:35], s[4:5], 0x58
	s_load_dwordx2 s[0:1], s[4:5], 0x10
	s_add_u32 s2, s4, 16
	s_addc_u32 s3, s5, 0
	s_waitcnt lgkmcnt(0)
	s_bitcmp1_b32 s35, 0
	s_cselect_b32 s1, s3, s1
	s_cselect_b32 s0, s2, s0
	v_mov_b32_e32 v1, s0
	v_mov_b32_e32 v2, s1
	flat_load_dwordx4 v[1:4], v[1:2]
	s_waitcnt vmcnt(0) lgkmcnt(0)
	v_cmp_neq_f64_e32 vcc, 0, v[1:2]
	v_cmp_neq_f64_e64 s[0:1], 0, v[3:4]
	s_or_b64 s[0:1], vcc, s[0:1]
	s_and_saveexec_b64 s[2:3], s[0:1]
	s_cbranch_execz .LBB88_87
; %bb.1:
	s_load_dwordx4 s[28:31], s[4:5], 0x0
	s_load_dwordx8 s[36:43], s[4:5], 0x20
	v_mov_b32_e32 v5, 0
	v_mov_b32_e32 v6, 0
	v_mov_b32_e32 v9, -1
	s_waitcnt lgkmcnt(0)
	s_mul_i32 s1, s6, s31
	s_mul_hi_u32 s2, s6, s30
	s_mul_i32 s0, s6, s30
	s_add_i32 s1, s2, s1
	s_lshl_b64 s[0:1], s[0:1], 8
	v_or_b32_e32 v17, s0, v0
	v_mov_b32_e32 v18, s1
	v_cmp_gt_i64_e32 vcc, s[28:29], v[17:18]
	v_mov_b32_e32 v8, v6
	s_mov_b32 s7, 0
	v_mov_b32_e32 v10, -1
	v_mov_b32_e32 v7, v5
	s_and_saveexec_b64 s[0:1], vcc
	s_cbranch_execz .LBB88_3
; %bb.2:
	v_lshlrev_b64 v[5:6], 3, v[17:18]
	v_mov_b32_e32 v8, s39
	v_add_co_u32_e32 v7, vcc, s38, v5
	v_addc_co_u32_e32 v8, vcc, v8, v6, vcc
	global_load_dwordx2 v[7:8], v[7:8], off glc slc
	v_mov_b32_e32 v9, s41
	v_add_co_u32_e32 v11, vcc, s40, v5
	v_addc_co_u32_e32 v12, vcc, v9, v6, vcc
	v_mov_b32_e32 v10, s43
	s_ashr_i32 s35, s34, 31
	s_lshl_b64 s[2:3], s[34:35], 4
	v_mov_b32_e32 v9, s3
	s_waitcnt vmcnt(0)
	v_lshlrev_b64 v[7:8], 4, v[7:8]
	v_add_co_u32_e32 v7, vcc, s42, v7
	v_addc_co_u32_e32 v8, vcc, v10, v8, vcc
	v_subrev_co_u32_e32 v13, vcc, s2, v7
	v_subb_co_u32_e32 v14, vcc, v8, v9, vcc
	global_load_dwordx4 v[7:10], v[13:14], off
	global_load_dwordx2 v[15:16], v[11:12], off glc slc
	v_mov_b32_e32 v11, s37
	v_add_co_u32_e32 v5, vcc, s36, v5
	v_addc_co_u32_e32 v6, vcc, v11, v6, vcc
	global_load_dwordx2 v[11:12], v[5:6], off glc slc
	s_mov_b32 s2, 0
	s_brev_b32 s3, 1
	s_waitcnt vmcnt(2)
	v_mul_f64 v[5:6], v[9:10], s[2:3]
	s_waitcnt vmcnt(1)
	v_mul_f64 v[9:10], v[15:16], v[9:10]
	v_fma_f64 v[5:6], v[15:16], v[7:8], v[5:6]
	v_fma_f64 v[7:8], v[7:8], 0, v[9:10]
	s_waitcnt vmcnt(0)
	v_subrev_co_u32_e32 v9, vcc, s34, v11
	v_subbrev_co_u32_e32 v10, vcc, 0, v12, vcc
.LBB88_3:
	s_or_b64 exec, exec, s[0:1]
	v_lshlrev_b32_e32 v11, 3, v0
	v_or_b32_e32 v21, 0x1000, v11
	v_lshlrev_b32_e32 v22, 4, v0
	v_cmp_eq_u32_e64 s[0:1], 0, v0
	v_cmp_ne_u32_e64 s[2:3], 0, v0
	v_add_u32_e32 v23, -8, v21
	ds_write_b64 v11, v[9:10] offset:4096
	ds_write_b128 v22, v[5:8]
	s_waitcnt lgkmcnt(0)
	s_barrier
	s_and_saveexec_b64 s[8:9], s[2:3]
	s_cbranch_execz .LBB88_7
; %bb.4:
	ds_read_b64 v[11:12], v23
	s_waitcnt lgkmcnt(0)
	v_cmp_eq_u64_e32 vcc, v[9:10], v[11:12]
	s_and_saveexec_b64 s[10:11], vcc
	s_cbranch_execz .LBB88_6
; %bb.5:
	v_add_u32_e32 v11, -16, v22
	ds_read_b128 v[11:14], v11
	s_waitcnt lgkmcnt(0)
	v_add_f64 v[5:6], v[5:6], v[11:12]
	v_add_f64 v[7:8], v[7:8], v[13:14]
.LBB88_6:
	s_or_b64 exec, exec, s[10:11]
.LBB88_7:
	s_or_b64 exec, exec, s[8:9]
	v_cmp_lt_u32_e64 s[22:23], 1, v0
	v_add_u32_e32 v24, -16, v21
	s_barrier
	ds_write_b128 v22, v[5:8]
	s_waitcnt lgkmcnt(0)
	s_barrier
	s_and_saveexec_b64 s[8:9], s[22:23]
	s_cbranch_execz .LBB88_11
; %bb.8:
	ds_read_b64 v[11:12], v24
	s_waitcnt lgkmcnt(0)
	v_cmp_eq_u64_e32 vcc, v[9:10], v[11:12]
	s_and_saveexec_b64 s[10:11], vcc
	s_cbranch_execz .LBB88_10
; %bb.9:
	v_subrev_u32_e32 v11, 32, v22
	ds_read_b128 v[11:14], v11
	s_waitcnt lgkmcnt(0)
	v_add_f64 v[5:6], v[5:6], v[11:12]
	v_add_f64 v[7:8], v[7:8], v[13:14]
.LBB88_10:
	s_or_b64 exec, exec, s[10:11]
.LBB88_11:
	s_or_b64 exec, exec, s[8:9]
	v_cmp_lt_u32_e64 s[8:9], 3, v0
	v_subrev_u32_e32 v25, 32, v21
	s_barrier
	ds_write_b128 v22, v[5:8]
	s_waitcnt lgkmcnt(0)
	s_barrier
	s_and_saveexec_b64 s[10:11], s[8:9]
	s_cbranch_execz .LBB88_15
; %bb.12:
	ds_read_b64 v[11:12], v25
	s_waitcnt lgkmcnt(0)
	v_cmp_eq_u64_e32 vcc, v[9:10], v[11:12]
	s_and_saveexec_b64 s[12:13], vcc
	s_cbranch_execz .LBB88_14
; %bb.13:
	v_subrev_u32_e32 v11, 64, v22
	ds_read_b128 v[11:14], v11
	s_waitcnt lgkmcnt(0)
	v_add_f64 v[5:6], v[5:6], v[11:12]
	v_add_f64 v[7:8], v[7:8], v[13:14]
.LBB88_14:
	s_or_b64 exec, exec, s[12:13]
.LBB88_15:
	s_or_b64 exec, exec, s[10:11]
	v_cmp_lt_u32_e64 s[10:11], 7, v0
	v_subrev_u32_e32 v26, 64, v21
	s_barrier
	ds_write_b128 v22, v[5:8]
	s_waitcnt lgkmcnt(0)
	s_barrier
	s_and_saveexec_b64 s[12:13], s[10:11]
	s_cbranch_execz .LBB88_19
; %bb.16:
	ds_read_b64 v[11:12], v26
	s_waitcnt lgkmcnt(0)
	v_cmp_eq_u64_e32 vcc, v[9:10], v[11:12]
	s_and_saveexec_b64 s[14:15], vcc
	s_cbranch_execz .LBB88_18
; %bb.17:
	v_add_u32_e32 v11, 0xffffff80, v22
	ds_read_b128 v[11:14], v11
	s_waitcnt lgkmcnt(0)
	v_add_f64 v[5:6], v[5:6], v[11:12]
	v_add_f64 v[7:8], v[7:8], v[13:14]
.LBB88_18:
	s_or_b64 exec, exec, s[14:15]
.LBB88_19:
	s_or_b64 exec, exec, s[12:13]
	v_cmp_lt_u32_e64 s[12:13], 15, v0
	s_barrier
	ds_write_b128 v22, v[5:8]
	s_waitcnt lgkmcnt(0)
	s_barrier
	s_and_saveexec_b64 s[14:15], s[12:13]
	s_cbranch_execz .LBB88_23
; %bb.20:
	v_add_u32_e32 v11, 0xffffff80, v21
	ds_read_b64 v[11:12], v11
	s_waitcnt lgkmcnt(0)
	v_cmp_eq_u64_e32 vcc, v[9:10], v[11:12]
	s_and_saveexec_b64 s[16:17], vcc
	s_cbranch_execz .LBB88_22
; %bb.21:
	v_add_u32_e32 v11, 0xffffff00, v22
	ds_read_b128 v[11:14], v11
	s_waitcnt lgkmcnt(0)
	v_add_f64 v[5:6], v[5:6], v[11:12]
	v_add_f64 v[7:8], v[7:8], v[13:14]
.LBB88_22:
	s_or_b64 exec, exec, s[16:17]
.LBB88_23:
	s_or_b64 exec, exec, s[14:15]
	v_cmp_lt_u32_e64 s[14:15], 31, v0
	s_barrier
	ds_write_b128 v22, v[5:8]
	s_waitcnt lgkmcnt(0)
	s_barrier
	s_and_saveexec_b64 s[16:17], s[14:15]
	s_cbranch_execz .LBB88_27
; %bb.24:
	v_add_u32_e32 v11, 0xffffff00, v21
	ds_read_b64 v[11:12], v11
	s_waitcnt lgkmcnt(0)
	v_cmp_eq_u64_e32 vcc, v[9:10], v[11:12]
	s_and_saveexec_b64 s[18:19], vcc
	s_cbranch_execz .LBB88_26
; %bb.25:
	v_add_u32_e32 v11, 0xfffffe00, v22
	ds_read_b128 v[11:14], v11
	s_waitcnt lgkmcnt(0)
	v_add_f64 v[5:6], v[5:6], v[11:12]
	v_add_f64 v[7:8], v[7:8], v[13:14]
.LBB88_26:
	s_or_b64 exec, exec, s[18:19]
.LBB88_27:
	;; [unrolled: 24-line block ×3, first 2 shown]
	s_or_b64 exec, exec, s[18:19]
	s_load_dwordx2 s[44:45], s[4:5], 0x40
	s_movk_i32 s18, 0x7f
	v_cmp_lt_u32_e64 s[18:19], s18, v0
	s_waitcnt lgkmcnt(0)
	s_barrier
	ds_write_b128 v22, v[5:8]
	s_waitcnt lgkmcnt(0)
	s_barrier
	s_and_saveexec_b64 s[20:21], s[18:19]
	s_cbranch_execz .LBB88_35
; %bb.32:
	v_add_u32_e32 v11, 0xfffffc00, v21
	ds_read_b64 v[11:12], v11
	s_waitcnt lgkmcnt(0)
	v_cmp_eq_u64_e32 vcc, v[9:10], v[11:12]
	s_and_saveexec_b64 s[24:25], vcc
	s_cbranch_execz .LBB88_34
; %bb.33:
	v_add_u32_e32 v11, 0xfffff800, v22
	ds_read_b128 v[11:14], v11
	s_waitcnt lgkmcnt(0)
	v_add_f64 v[5:6], v[5:6], v[11:12]
	v_add_f64 v[7:8], v[7:8], v[13:14]
.LBB88_34:
	s_or_b64 exec, exec, s[24:25]
.LBB88_35:
	s_or_b64 exec, exec, s[20:21]
	s_movk_i32 s20, 0xff
	v_cmp_gt_u32_e64 s[20:21], s20, v0
	s_barrier
	ds_write_b128 v22, v[5:8]
	s_waitcnt lgkmcnt(0)
	s_barrier
	s_and_saveexec_b64 s[26:27], s[20:21]
	s_cbranch_execz .LBB88_38
; %bb.36:
	ds_read_b64 v[11:12], v21 offset:8
	v_cmp_lt_i64_e64 s[24:25], -1, v[9:10]
	s_waitcnt lgkmcnt(0)
	v_cmp_ne_u64_e32 vcc, v[9:10], v[11:12]
	s_and_b64 s[24:25], s[24:25], vcc
	s_and_b64 exec, exec, s[24:25]
	s_cbranch_execz .LBB88_38
; %bb.37:
	v_lshlrev_b64 v[11:12], 4, v[9:10]
	v_mov_b32_e32 v13, s45
	v_add_co_u32_e32 v15, vcc, s44, v11
	v_addc_co_u32_e32 v16, vcc, v13, v12, vcc
	global_load_dwordx4 v[11:14], v[15:16], off
	s_waitcnt vmcnt(0)
	v_fma_f64 v[11:12], v[1:2], v[5:6], v[11:12]
	v_fma_f64 v[13:14], v[3:4], v[5:6], v[13:14]
	v_fma_f64 v[11:12], -v[3:4], v[7:8], v[11:12]
	v_fma_f64 v[13:14], v[1:2], v[7:8], v[13:14]
	global_store_dwordx4 v[15:16], v[11:14], off
.LBB88_38:
	s_or_b64 exec, exec, s[26:27]
	s_load_dwordx4 s[24:27], s[4:5], 0x48
	v_cmp_lt_i64_e64 s[4:5], s[30:31], 2
	s_and_b64 vcc, exec, s[4:5]
	s_cbranch_vccnz .LBB88_85
; %bb.39:
	s_add_u32 s46, s30, -1
	s_addc_u32 s47, s31, -1
	s_ashr_i32 s35, s34, 31
	s_lshl_b64 s[4:5], s[34:35], 4
	s_sub_u32 s33, s42, s4
	s_subb_u32 s35, s43, s5
	s_mul_i32 s4, s31, s6
	s_mul_hi_u32 s5, s30, s6
	s_add_i32 s5, s5, s4
	s_mul_i32 s4, s30, s6
	s_lshl_b64 s[4:5], s[4:5], 11
	v_lshl_or_b32 v5, v0, 3, s4
	s_movk_i32 s4, 0x800
	v_mov_b32_e32 v6, s5
	v_add_co_u32_e32 v5, vcc, s4, v5
	v_addc_co_u32_e32 v6, vcc, 0, v6, vcc
	v_mov_b32_e32 v7, s39
	v_add_co_u32_e32 v11, vcc, s38, v5
	v_addc_co_u32_e32 v12, vcc, v7, v6, vcc
	;; [unrolled: 3-line block ×4, first 2 shown]
	s_movk_i32 s4, 0x100
	v_add_co_u32_e32 v17, vcc, s4, v17
	s_mov_b32 s36, 0
	v_subrev_u32_e32 v27, 64, v22
	v_add_u32_e32 v28, 0xffffff80, v22
	v_add_u32_e32 v29, 0xffffff80, v21
	;; [unrolled: 1-line block ×8, first 2 shown]
	v_addc_co_u32_e32 v18, vcc, 0, v18, vcc
	v_add_u32_e32 v36, 0xfffff800, v22
	s_mov_b64 s[30:31], 0
	s_brev_b32 s37, 1
	v_mov_b32_e32 v37, 0
	s_branch .LBB88_41
.LBB88_40:                              ;   in Loop: Header=BB88_41 Depth=1
	s_or_b64 exec, exec, s[38:39]
	v_add_co_u32_e32 v11, vcc, 0x800, v11
	v_addc_co_u32_e32 v12, vcc, 0, v12, vcc
	v_add_co_u32_e32 v13, vcc, 0x800, v13
	v_addc_co_u32_e32 v14, vcc, 0, v14, vcc
	s_add_u32 s30, s30, 1
	v_add_co_u32_e32 v15, vcc, 0x800, v15
	s_addc_u32 s31, s31, 0
	v_mov_b32_e32 v19, s30
	v_addc_co_u32_e32 v16, vcc, 0, v16, vcc
	v_mov_b32_e32 v20, s31
	v_add_co_u32_e32 v17, vcc, 0x100, v17
	v_cmp_le_u64_e64 s[4:5], s[46:47], v[19:20]
	v_addc_co_u32_e32 v18, vcc, 0, v18, vcc
	s_and_b64 vcc, exec, s[4:5]
	s_cbranch_vccnz .LBB88_85
.LBB88_41:                              ; =>This Inner Loop Header: Depth=1
	v_cmp_gt_i64_e32 vcc, s[28:29], v[17:18]
	v_mov_b32_e32 v9, -1
	v_mov_b32_e32 v5, 0
	v_mov_b32_e32 v7, 0
	v_mov_b32_e32 v10, -1
	v_mov_b32_e32 v6, 0
	v_mov_b32_e32 v8, 0
	s_and_saveexec_b64 s[4:5], vcc
	s_cbranch_execz .LBB88_43
; %bb.42:                               ;   in Loop: Header=BB88_41 Depth=1
	global_load_dwordx2 v[5:6], v[11:12], off glc slc
	v_mov_b32_e32 v7, s35
	s_waitcnt vmcnt(0)
	v_lshlrev_b64 v[5:6], 4, v[5:6]
	v_add_co_u32_e32 v5, vcc, s33, v5
	v_addc_co_u32_e32 v6, vcc, v7, v6, vcc
	global_load_dwordx4 v[7:10], v[5:6], off
	global_load_dwordx2 v[19:20], v[13:14], off glc slc
	global_load_dwordx2 v[38:39], v[15:16], off glc slc
	s_waitcnt vmcnt(2)
	v_mul_f64 v[5:6], v[9:10], s[36:37]
	s_waitcnt vmcnt(1)
	v_mul_f64 v[9:10], v[19:20], v[9:10]
	v_fma_f64 v[5:6], v[19:20], v[7:8], v[5:6]
	v_fma_f64 v[7:8], v[7:8], 0, v[9:10]
	s_waitcnt vmcnt(0)
	v_subrev_co_u32_e32 v9, vcc, s34, v38
	v_subbrev_co_u32_e32 v10, vcc, 0, v39, vcc
.LBB88_43:                              ;   in Loop: Header=BB88_41 Depth=1
	s_or_b64 exec, exec, s[4:5]
	s_and_saveexec_b64 s[4:5], s[0:1]
	s_cbranch_execz .LBB88_50
; %bb.44:                               ;   in Loop: Header=BB88_41 Depth=1
	ds_read_b64 v[19:20], v37 offset:6136
	s_waitcnt lgkmcnt(0)
	v_cmp_ne_u64_e32 vcc, v[9:10], v[19:20]
	s_and_saveexec_b64 s[38:39], vcc
	s_xor_b64 s[38:39], exec, s[38:39]
	s_cbranch_execz .LBB88_47
; %bb.45:                               ;   in Loop: Header=BB88_41 Depth=1
	v_cmp_gt_i64_e32 vcc, 0, v[19:20]
	s_cbranch_vccnz .LBB88_47
; %bb.46:                               ;   in Loop: Header=BB88_41 Depth=1
	v_lshlrev_b64 v[19:20], 4, v[19:20]
	v_mov_b32_e32 v38, s45
	v_add_co_u32_e32 v19, vcc, s44, v19
	v_addc_co_u32_e32 v20, vcc, v38, v20, vcc
	global_load_dwordx4 v[38:41], v[19:20], off
	ds_read_b128 v[42:45], v37 offset:4080
	s_waitcnt vmcnt(0) lgkmcnt(0)
	v_fma_f64 v[38:39], v[1:2], v[42:43], v[38:39]
	v_fma_f64 v[40:41], v[3:4], v[42:43], v[40:41]
	v_fma_f64 v[38:39], -v[3:4], v[44:45], v[38:39]
	v_fma_f64 v[40:41], v[1:2], v[44:45], v[40:41]
	global_store_dwordx4 v[19:20], v[38:41], off
.LBB88_47:                              ;   in Loop: Header=BB88_41 Depth=1
	s_andn2_saveexec_b64 s[38:39], s[38:39]
	s_cbranch_execz .LBB88_49
; %bb.48:                               ;   in Loop: Header=BB88_41 Depth=1
	ds_read_b128 v[38:41], v37 offset:4080
	s_waitcnt lgkmcnt(0)
	v_add_f64 v[5:6], v[5:6], v[38:39]
	v_add_f64 v[7:8], v[7:8], v[40:41]
.LBB88_49:                              ;   in Loop: Header=BB88_41 Depth=1
	s_or_b64 exec, exec, s[38:39]
.LBB88_50:                              ;   in Loop: Header=BB88_41 Depth=1
	s_or_b64 exec, exec, s[4:5]
	s_waitcnt vmcnt(0) lgkmcnt(0)
	s_barrier
	ds_write_b64 v21, v[9:10]
	ds_write_b128 v22, v[5:8]
	s_waitcnt lgkmcnt(0)
	s_barrier
	s_and_saveexec_b64 s[4:5], s[2:3]
	s_cbranch_execz .LBB88_54
; %bb.51:                               ;   in Loop: Header=BB88_41 Depth=1
	ds_read_b64 v[19:20], v23
	s_waitcnt lgkmcnt(0)
	v_cmp_eq_u64_e32 vcc, v[9:10], v[19:20]
	s_and_saveexec_b64 s[38:39], vcc
	s_cbranch_execz .LBB88_53
; %bb.52:                               ;   in Loop: Header=BB88_41 Depth=1
	v_add_u32_e32 v19, -16, v22
	ds_read_b128 v[38:41], v19
	s_waitcnt lgkmcnt(0)
	v_add_f64 v[5:6], v[5:6], v[38:39]
	v_add_f64 v[7:8], v[7:8], v[40:41]
.LBB88_53:                              ;   in Loop: Header=BB88_41 Depth=1
	s_or_b64 exec, exec, s[38:39]
.LBB88_54:                              ;   in Loop: Header=BB88_41 Depth=1
	s_or_b64 exec, exec, s[4:5]
	s_barrier
	ds_write_b128 v22, v[5:8]
	s_waitcnt lgkmcnt(0)
	s_barrier
	s_and_saveexec_b64 s[4:5], s[22:23]
	s_cbranch_execz .LBB88_58
; %bb.55:                               ;   in Loop: Header=BB88_41 Depth=1
	ds_read_b64 v[19:20], v24
	s_waitcnt lgkmcnt(0)
	v_cmp_eq_u64_e32 vcc, v[9:10], v[19:20]
	s_and_saveexec_b64 s[38:39], vcc
	s_cbranch_execz .LBB88_57
; %bb.56:                               ;   in Loop: Header=BB88_41 Depth=1
	v_subrev_u32_e32 v19, 32, v22
	ds_read_b128 v[38:41], v19
	s_waitcnt lgkmcnt(0)
	v_add_f64 v[5:6], v[5:6], v[38:39]
	v_add_f64 v[7:8], v[7:8], v[40:41]
.LBB88_57:                              ;   in Loop: Header=BB88_41 Depth=1
	s_or_b64 exec, exec, s[38:39]
.LBB88_58:                              ;   in Loop: Header=BB88_41 Depth=1
	s_or_b64 exec, exec, s[4:5]
	s_barrier
	ds_write_b128 v22, v[5:8]
	s_waitcnt lgkmcnt(0)
	s_barrier
	s_and_saveexec_b64 s[4:5], s[8:9]
	s_cbranch_execz .LBB88_62
; %bb.59:                               ;   in Loop: Header=BB88_41 Depth=1
	ds_read_b64 v[19:20], v25
	s_waitcnt lgkmcnt(0)
	v_cmp_eq_u64_e32 vcc, v[9:10], v[19:20]
	s_and_saveexec_b64 s[38:39], vcc
	s_cbranch_execz .LBB88_61
; %bb.60:                               ;   in Loop: Header=BB88_41 Depth=1
	ds_read_b128 v[38:41], v27
	s_waitcnt lgkmcnt(0)
	v_add_f64 v[5:6], v[5:6], v[38:39]
	v_add_f64 v[7:8], v[7:8], v[40:41]
.LBB88_61:                              ;   in Loop: Header=BB88_41 Depth=1
	s_or_b64 exec, exec, s[38:39]
.LBB88_62:                              ;   in Loop: Header=BB88_41 Depth=1
	s_or_b64 exec, exec, s[4:5]
	s_barrier
	ds_write_b128 v22, v[5:8]
	s_waitcnt lgkmcnt(0)
	s_barrier
	s_and_saveexec_b64 s[4:5], s[10:11]
	s_cbranch_execz .LBB88_66
; %bb.63:                               ;   in Loop: Header=BB88_41 Depth=1
	ds_read_b64 v[19:20], v26
	s_waitcnt lgkmcnt(0)
	v_cmp_eq_u64_e32 vcc, v[9:10], v[19:20]
	s_and_saveexec_b64 s[38:39], vcc
	s_cbranch_execz .LBB88_65
; %bb.64:                               ;   in Loop: Header=BB88_41 Depth=1
	ds_read_b128 v[38:41], v28
	s_waitcnt lgkmcnt(0)
	v_add_f64 v[5:6], v[5:6], v[38:39]
	v_add_f64 v[7:8], v[7:8], v[40:41]
.LBB88_65:                              ;   in Loop: Header=BB88_41 Depth=1
	s_or_b64 exec, exec, s[38:39]
.LBB88_66:                              ;   in Loop: Header=BB88_41 Depth=1
	s_or_b64 exec, exec, s[4:5]
	s_barrier
	ds_write_b128 v22, v[5:8]
	s_waitcnt lgkmcnt(0)
	s_barrier
	s_and_saveexec_b64 s[4:5], s[12:13]
	s_cbranch_execz .LBB88_70
; %bb.67:                               ;   in Loop: Header=BB88_41 Depth=1
	ds_read_b64 v[19:20], v29
	s_waitcnt lgkmcnt(0)
	v_cmp_eq_u64_e32 vcc, v[9:10], v[19:20]
	s_and_saveexec_b64 s[38:39], vcc
	s_cbranch_execz .LBB88_69
; %bb.68:                               ;   in Loop: Header=BB88_41 Depth=1
	ds_read_b128 v[38:41], v30
	s_waitcnt lgkmcnt(0)
	v_add_f64 v[5:6], v[5:6], v[38:39]
	v_add_f64 v[7:8], v[7:8], v[40:41]
.LBB88_69:                              ;   in Loop: Header=BB88_41 Depth=1
	s_or_b64 exec, exec, s[38:39]
.LBB88_70:                              ;   in Loop: Header=BB88_41 Depth=1
	s_or_b64 exec, exec, s[4:5]
	s_barrier
	ds_write_b128 v22, v[5:8]
	s_waitcnt lgkmcnt(0)
	s_barrier
	s_and_saveexec_b64 s[4:5], s[14:15]
	s_cbranch_execz .LBB88_74
; %bb.71:                               ;   in Loop: Header=BB88_41 Depth=1
	ds_read_b64 v[19:20], v31
	s_waitcnt lgkmcnt(0)
	v_cmp_eq_u64_e32 vcc, v[9:10], v[19:20]
	s_and_saveexec_b64 s[38:39], vcc
	s_cbranch_execz .LBB88_73
; %bb.72:                               ;   in Loop: Header=BB88_41 Depth=1
	ds_read_b128 v[38:41], v32
	s_waitcnt lgkmcnt(0)
	v_add_f64 v[5:6], v[5:6], v[38:39]
	v_add_f64 v[7:8], v[7:8], v[40:41]
.LBB88_73:                              ;   in Loop: Header=BB88_41 Depth=1
	s_or_b64 exec, exec, s[38:39]
.LBB88_74:                              ;   in Loop: Header=BB88_41 Depth=1
	s_or_b64 exec, exec, s[4:5]
	s_barrier
	ds_write_b128 v22, v[5:8]
	s_waitcnt lgkmcnt(0)
	s_barrier
	s_and_saveexec_b64 s[4:5], s[16:17]
	s_cbranch_execz .LBB88_78
; %bb.75:                               ;   in Loop: Header=BB88_41 Depth=1
	ds_read_b64 v[19:20], v33
	s_waitcnt lgkmcnt(0)
	v_cmp_eq_u64_e32 vcc, v[9:10], v[19:20]
	s_and_saveexec_b64 s[38:39], vcc
	s_cbranch_execz .LBB88_77
; %bb.76:                               ;   in Loop: Header=BB88_41 Depth=1
	ds_read_b128 v[38:41], v34
	s_waitcnt lgkmcnt(0)
	v_add_f64 v[5:6], v[5:6], v[38:39]
	v_add_f64 v[7:8], v[7:8], v[40:41]
.LBB88_77:                              ;   in Loop: Header=BB88_41 Depth=1
	s_or_b64 exec, exec, s[38:39]
.LBB88_78:                              ;   in Loop: Header=BB88_41 Depth=1
	s_or_b64 exec, exec, s[4:5]
	s_barrier
	ds_write_b128 v22, v[5:8]
	s_waitcnt lgkmcnt(0)
	s_barrier
	s_and_saveexec_b64 s[4:5], s[18:19]
	s_cbranch_execz .LBB88_82
; %bb.79:                               ;   in Loop: Header=BB88_41 Depth=1
	ds_read_b64 v[19:20], v35
	s_waitcnt lgkmcnt(0)
	v_cmp_eq_u64_e32 vcc, v[9:10], v[19:20]
	s_and_saveexec_b64 s[38:39], vcc
	s_cbranch_execz .LBB88_81
; %bb.80:                               ;   in Loop: Header=BB88_41 Depth=1
	ds_read_b128 v[38:41], v36
	s_waitcnt lgkmcnt(0)
	v_add_f64 v[5:6], v[5:6], v[38:39]
	v_add_f64 v[7:8], v[7:8], v[40:41]
.LBB88_81:                              ;   in Loop: Header=BB88_41 Depth=1
	s_or_b64 exec, exec, s[38:39]
.LBB88_82:                              ;   in Loop: Header=BB88_41 Depth=1
	s_or_b64 exec, exec, s[4:5]
	s_barrier
	ds_write_b128 v22, v[5:8]
	s_waitcnt lgkmcnt(0)
	s_barrier
	s_and_saveexec_b64 s[38:39], s[20:21]
	s_cbranch_execz .LBB88_40
; %bb.83:                               ;   in Loop: Header=BB88_41 Depth=1
	ds_read_b64 v[19:20], v21 offset:8
	v_cmp_lt_i64_e64 s[4:5], -1, v[9:10]
	s_waitcnt lgkmcnt(0)
	v_cmp_ne_u64_e32 vcc, v[9:10], v[19:20]
	s_and_b64 s[4:5], s[4:5], vcc
	s_and_b64 exec, exec, s[4:5]
	s_cbranch_execz .LBB88_40
; %bb.84:                               ;   in Loop: Header=BB88_41 Depth=1
	v_lshlrev_b64 v[19:20], 4, v[9:10]
	v_mov_b32_e32 v38, s45
	v_add_co_u32_e32 v19, vcc, s44, v19
	v_addc_co_u32_e32 v20, vcc, v38, v20, vcc
	global_load_dwordx4 v[38:41], v[19:20], off
	s_waitcnt vmcnt(0)
	v_fma_f64 v[38:39], v[1:2], v[5:6], v[38:39]
	v_fma_f64 v[40:41], v[3:4], v[5:6], v[40:41]
	v_fma_f64 v[38:39], -v[3:4], v[7:8], v[38:39]
	v_fma_f64 v[40:41], v[1:2], v[7:8], v[40:41]
	global_store_dwordx4 v[19:20], v[38:41], off
	s_branch .LBB88_40
.LBB88_85:
	s_movk_i32 s0, 0xff
	v_cmp_eq_u32_e32 vcc, s0, v0
	s_and_b64 exec, exec, vcc
	s_cbranch_execz .LBB88_87
; %bb.86:
	v_mul_f64 v[11:12], v[7:8], -v[3:4]
	v_mul_f64 v[7:8], v[1:2], v[7:8]
	s_lshl_b64 s[0:1], s[6:7], 3
	s_waitcnt lgkmcnt(0)
	s_add_u32 s0, s24, s0
	s_addc_u32 s1, s25, s1
	v_fma_f64 v[0:1], v[1:2], v[5:6], v[11:12]
	v_fma_f64 v[2:3], v[3:4], v[5:6], v[7:8]
	v_mov_b32_e32 v4, 0
	global_store_dwordx2 v4, v[9:10], s[0:1] glc slc
	s_lshl_b64 s[0:1], s[6:7], 4
	s_add_u32 s0, s26, s0
	s_addc_u32 s1, s27, s1
	global_store_dwordx4 v4, v[0:3], s[0:1] glc slc
.LBB88_87:
	s_endpgm
	.section	.rodata,"a",@progbits
	.p2align	6, 0x0
	.amdhsa_kernel _ZN9rocsparseL22coomvn_segmented_loopsILj256Eld21rocsparse_complex_numIdES2_S2_EEvlT0_NS_24const_host_device_scalarIT4_EEPKS3_S8_PKT1_PKT2_PT3_PS3_PS5_21rocsparse_index_base_b
		.amdhsa_group_segment_fixed_size 6144
		.amdhsa_private_segment_fixed_size 0
		.amdhsa_kernarg_size 96
		.amdhsa_user_sgpr_count 6
		.amdhsa_user_sgpr_private_segment_buffer 1
		.amdhsa_user_sgpr_dispatch_ptr 0
		.amdhsa_user_sgpr_queue_ptr 0
		.amdhsa_user_sgpr_kernarg_segment_ptr 1
		.amdhsa_user_sgpr_dispatch_id 0
		.amdhsa_user_sgpr_flat_scratch_init 0
		.amdhsa_user_sgpr_private_segment_size 0
		.amdhsa_uses_dynamic_stack 0
		.amdhsa_system_sgpr_private_segment_wavefront_offset 0
		.amdhsa_system_sgpr_workgroup_id_x 1
		.amdhsa_system_sgpr_workgroup_id_y 0
		.amdhsa_system_sgpr_workgroup_id_z 0
		.amdhsa_system_sgpr_workgroup_info 0
		.amdhsa_system_vgpr_workitem_id 0
		.amdhsa_next_free_vgpr 46
		.amdhsa_next_free_sgpr 48
		.amdhsa_reserve_vcc 1
		.amdhsa_reserve_flat_scratch 0
		.amdhsa_float_round_mode_32 0
		.amdhsa_float_round_mode_16_64 0
		.amdhsa_float_denorm_mode_32 3
		.amdhsa_float_denorm_mode_16_64 3
		.amdhsa_dx10_clamp 1
		.amdhsa_ieee_mode 1
		.amdhsa_fp16_overflow 0
		.amdhsa_exception_fp_ieee_invalid_op 0
		.amdhsa_exception_fp_denorm_src 0
		.amdhsa_exception_fp_ieee_div_zero 0
		.amdhsa_exception_fp_ieee_overflow 0
		.amdhsa_exception_fp_ieee_underflow 0
		.amdhsa_exception_fp_ieee_inexact 0
		.amdhsa_exception_int_div_zero 0
	.end_amdhsa_kernel
	.section	.text._ZN9rocsparseL22coomvn_segmented_loopsILj256Eld21rocsparse_complex_numIdES2_S2_EEvlT0_NS_24const_host_device_scalarIT4_EEPKS3_S8_PKT1_PKT2_PT3_PS3_PS5_21rocsparse_index_base_b,"axG",@progbits,_ZN9rocsparseL22coomvn_segmented_loopsILj256Eld21rocsparse_complex_numIdES2_S2_EEvlT0_NS_24const_host_device_scalarIT4_EEPKS3_S8_PKT1_PKT2_PT3_PS3_PS5_21rocsparse_index_base_b,comdat
.Lfunc_end88:
	.size	_ZN9rocsparseL22coomvn_segmented_loopsILj256Eld21rocsparse_complex_numIdES2_S2_EEvlT0_NS_24const_host_device_scalarIT4_EEPKS3_S8_PKT1_PKT2_PT3_PS3_PS5_21rocsparse_index_base_b, .Lfunc_end88-_ZN9rocsparseL22coomvn_segmented_loopsILj256Eld21rocsparse_complex_numIdES2_S2_EEvlT0_NS_24const_host_device_scalarIT4_EEPKS3_S8_PKT1_PKT2_PT3_PS3_PS5_21rocsparse_index_base_b
                                        ; -- End function
	.set _ZN9rocsparseL22coomvn_segmented_loopsILj256Eld21rocsparse_complex_numIdES2_S2_EEvlT0_NS_24const_host_device_scalarIT4_EEPKS3_S8_PKT1_PKT2_PT3_PS3_PS5_21rocsparse_index_base_b.num_vgpr, 46
	.set _ZN9rocsparseL22coomvn_segmented_loopsILj256Eld21rocsparse_complex_numIdES2_S2_EEvlT0_NS_24const_host_device_scalarIT4_EEPKS3_S8_PKT1_PKT2_PT3_PS3_PS5_21rocsparse_index_base_b.num_agpr, 0
	.set _ZN9rocsparseL22coomvn_segmented_loopsILj256Eld21rocsparse_complex_numIdES2_S2_EEvlT0_NS_24const_host_device_scalarIT4_EEPKS3_S8_PKT1_PKT2_PT3_PS3_PS5_21rocsparse_index_base_b.numbered_sgpr, 48
	.set _ZN9rocsparseL22coomvn_segmented_loopsILj256Eld21rocsparse_complex_numIdES2_S2_EEvlT0_NS_24const_host_device_scalarIT4_EEPKS3_S8_PKT1_PKT2_PT3_PS3_PS5_21rocsparse_index_base_b.num_named_barrier, 0
	.set _ZN9rocsparseL22coomvn_segmented_loopsILj256Eld21rocsparse_complex_numIdES2_S2_EEvlT0_NS_24const_host_device_scalarIT4_EEPKS3_S8_PKT1_PKT2_PT3_PS3_PS5_21rocsparse_index_base_b.private_seg_size, 0
	.set _ZN9rocsparseL22coomvn_segmented_loopsILj256Eld21rocsparse_complex_numIdES2_S2_EEvlT0_NS_24const_host_device_scalarIT4_EEPKS3_S8_PKT1_PKT2_PT3_PS3_PS5_21rocsparse_index_base_b.uses_vcc, 1
	.set _ZN9rocsparseL22coomvn_segmented_loopsILj256Eld21rocsparse_complex_numIdES2_S2_EEvlT0_NS_24const_host_device_scalarIT4_EEPKS3_S8_PKT1_PKT2_PT3_PS3_PS5_21rocsparse_index_base_b.uses_flat_scratch, 0
	.set _ZN9rocsparseL22coomvn_segmented_loopsILj256Eld21rocsparse_complex_numIdES2_S2_EEvlT0_NS_24const_host_device_scalarIT4_EEPKS3_S8_PKT1_PKT2_PT3_PS3_PS5_21rocsparse_index_base_b.has_dyn_sized_stack, 0
	.set _ZN9rocsparseL22coomvn_segmented_loopsILj256Eld21rocsparse_complex_numIdES2_S2_EEvlT0_NS_24const_host_device_scalarIT4_EEPKS3_S8_PKT1_PKT2_PT3_PS3_PS5_21rocsparse_index_base_b.has_recursion, 0
	.set _ZN9rocsparseL22coomvn_segmented_loopsILj256Eld21rocsparse_complex_numIdES2_S2_EEvlT0_NS_24const_host_device_scalarIT4_EEPKS3_S8_PKT1_PKT2_PT3_PS3_PS5_21rocsparse_index_base_b.has_indirect_call, 0
	.section	.AMDGPU.csdata,"",@progbits
; Kernel info:
; codeLenInByte = 3020
; TotalNumSgprs: 52
; NumVgprs: 46
; ScratchSize: 0
; MemoryBound: 1
; FloatMode: 240
; IeeeMode: 1
; LDSByteSize: 6144 bytes/workgroup (compile time only)
; SGPRBlocks: 6
; VGPRBlocks: 11
; NumSGPRsForWavesPerEU: 52
; NumVGPRsForWavesPerEU: 46
; Occupancy: 5
; WaveLimiterHint : 1
; COMPUTE_PGM_RSRC2:SCRATCH_EN: 0
; COMPUTE_PGM_RSRC2:USER_SGPR: 6
; COMPUTE_PGM_RSRC2:TRAP_HANDLER: 0
; COMPUTE_PGM_RSRC2:TGID_X_EN: 1
; COMPUTE_PGM_RSRC2:TGID_Y_EN: 0
; COMPUTE_PGM_RSRC2:TGID_Z_EN: 0
; COMPUTE_PGM_RSRC2:TIDIG_COMP_CNT: 0
	.section	.text._ZN9rocsparseL13coomvt_kernelILj1024Eld21rocsparse_complex_numIdES2_S2_EEv20rocsparse_operation_lNS_24const_host_device_scalarIT4_EEPKT0_S9_PKT1_PKT2_PT3_21rocsparse_index_base_b,"axG",@progbits,_ZN9rocsparseL13coomvt_kernelILj1024Eld21rocsparse_complex_numIdES2_S2_EEv20rocsparse_operation_lNS_24const_host_device_scalarIT4_EEPKT0_S9_PKT1_PKT2_PT3_21rocsparse_index_base_b,comdat
	.globl	_ZN9rocsparseL13coomvt_kernelILj1024Eld21rocsparse_complex_numIdES2_S2_EEv20rocsparse_operation_lNS_24const_host_device_scalarIT4_EEPKT0_S9_PKT1_PKT2_PT3_21rocsparse_index_base_b ; -- Begin function _ZN9rocsparseL13coomvt_kernelILj1024Eld21rocsparse_complex_numIdES2_S2_EEv20rocsparse_operation_lNS_24const_host_device_scalarIT4_EEPKT0_S9_PKT1_PKT2_PT3_21rocsparse_index_base_b
	.p2align	8
	.type	_ZN9rocsparseL13coomvt_kernelILj1024Eld21rocsparse_complex_numIdES2_S2_EEv20rocsparse_operation_lNS_24const_host_device_scalarIT4_EEPKT0_S9_PKT1_PKT2_PT3_21rocsparse_index_base_b,@function
_ZN9rocsparseL13coomvt_kernelILj1024Eld21rocsparse_complex_numIdES2_S2_EEv20rocsparse_operation_lNS_24const_host_device_scalarIT4_EEPKT0_S9_PKT1_PKT2_PT3_21rocsparse_index_base_b: ; @_ZN9rocsparseL13coomvt_kernelILj1024Eld21rocsparse_complex_numIdES2_S2_EEv20rocsparse_operation_lNS_24const_host_device_scalarIT4_EEPKT0_S9_PKT1_PKT2_PT3_21rocsparse_index_base_b
; %bb.0:
	s_load_dwordx2 s[2:3], s[4:5], 0x48
	s_load_dwordx4 s[8:11], s[4:5], 0x8
	s_add_u32 s0, s4, 16
	s_addc_u32 s1, s5, 0
	s_waitcnt lgkmcnt(0)
	s_bitcmp1_b32 s3, 0
	s_cselect_b32 s1, s1, s11
	s_cselect_b32 s0, s0, s10
	v_mov_b32_e32 v1, s0
	v_mov_b32_e32 v2, s1
	flat_load_dwordx4 v[1:4], v[1:2]
	s_waitcnt vmcnt(0) lgkmcnt(0)
	v_cmp_neq_f64_e32 vcc, 0, v[1:2]
	v_cmp_neq_f64_e64 s[0:1], 0, v[3:4]
	s_or_b64 s[0:1], vcc, s[0:1]
	s_and_saveexec_b64 s[10:11], s[0:1]
	s_cbranch_execz .LBB89_6
; %bb.1:
	s_load_dword s0, s[4:5], 0x5c
	v_mov_b32_e32 v6, 0
	s_waitcnt lgkmcnt(0)
	s_and_b32 s0, s0, 0xffff
	s_mul_i32 s6, s6, s0
	v_add_u32_e32 v5, s6, v0
	v_cmp_gt_i64_e32 vcc, s[8:9], v[5:6]
	s_and_b64 exec, exec, vcc
	s_cbranch_execz .LBB89_6
; %bb.2:
	s_load_dwordx8 s[8:15], s[4:5], 0x20
	v_lshlrev_b64 v[5:6], 3, v[5:6]
	s_load_dwordx2 s[0:1], s[4:5], 0x40
	s_waitcnt lgkmcnt(0)
	v_mov_b32_e32 v0, s9
	v_add_co_u32_e32 v7, vcc, s8, v5
	v_addc_co_u32_e32 v8, vcc, v0, v6, vcc
	global_load_dwordx2 v[7:8], v[7:8], off
	v_mov_b32_e32 v0, s11
	v_add_co_u32_e32 v9, vcc, s10, v5
	v_addc_co_u32_e32 v10, vcc, v0, v6, vcc
	global_load_dwordx2 v[9:10], v[9:10], off
	;; [unrolled: 4-line block ×3, first 2 shown]
	v_mov_b32_e32 v11, s15
	v_mov_b32_e32 v0, s1
	s_waitcnt vmcnt(2)
	v_subrev_co_u32_e32 v5, vcc, s2, v7
	v_subbrev_co_u32_e32 v6, vcc, 0, v8, vcc
	v_lshlrev_b64 v[5:6], 4, v[5:6]
	v_add_co_u32_e32 v5, vcc, s14, v5
	v_addc_co_u32_e32 v6, vcc, v11, v6, vcc
	global_load_dwordx4 v[5:8], v[5:6], off
	s_waitcnt vmcnt(2)
	v_subrev_co_u32_e32 v9, vcc, s2, v9
	v_subbrev_co_u32_e32 v10, vcc, 0, v10, vcc
	v_lshlrev_b64 v[9:10], 4, v[9:10]
	v_add_co_u32_e32 v13, vcc, s0, v9
	v_addc_co_u32_e32 v14, vcc, v0, v10, vcc
	global_load_dwordx2 v[11:12], v[13:14], off
	v_mul_f64 v[9:10], v[1:2], 0
	s_mov_b32 s0, 0
	s_brev_b32 s1, 1
	v_mul_f64 v[19:20], v[3:4], s[0:1]
	s_mov_b64 s[0:1], 0
	s_waitcnt vmcnt(2)
	v_fma_f64 v[15:16], v[3:4], v[17:18], v[9:10]
	v_fma_f64 v[0:1], v[1:2], v[17:18], v[19:20]
	s_waitcnt vmcnt(1)
	v_mul_f64 v[2:3], v[7:8], -v[15:16]
	v_fma_f64 v[2:3], v[0:1], v[5:6], v[2:3]
.LBB89_3:                               ; =>This Inner Loop Header: Depth=1
	s_waitcnt vmcnt(0)
	v_add_f64 v[9:10], v[11:12], v[2:3]
	global_atomic_cmpswap_x2 v[9:10], v[13:14], v[9:12], off glc
	s_waitcnt vmcnt(0)
	v_cmp_eq_u64_e32 vcc, v[9:10], v[11:12]
	v_mov_b32_e32 v12, v10
	s_or_b64 s[0:1], vcc, s[0:1]
	v_mov_b32_e32 v11, v9
	s_andn2_b64 exec, exec, s[0:1]
	s_cbranch_execnz .LBB89_3
; %bb.4:
	s_or_b64 exec, exec, s[0:1]
	global_load_dwordx2 v[2:3], v[13:14], off offset:8
	v_mul_f64 v[0:1], v[0:1], v[7:8]
	s_mov_b64 s[0:1], 0
	v_fma_f64 v[4:5], v[15:16], v[5:6], v[0:1]
.LBB89_5:                               ; =>This Inner Loop Header: Depth=1
	s_waitcnt vmcnt(0)
	v_add_f64 v[0:1], v[2:3], v[4:5]
	global_atomic_cmpswap_x2 v[0:1], v[13:14], v[0:3], off offset:8 glc
	s_waitcnt vmcnt(0)
	v_cmp_eq_u64_e32 vcc, v[0:1], v[2:3]
	v_mov_b32_e32 v3, v1
	s_or_b64 s[0:1], vcc, s[0:1]
	v_mov_b32_e32 v2, v0
	s_andn2_b64 exec, exec, s[0:1]
	s_cbranch_execnz .LBB89_5
.LBB89_6:
	s_endpgm
	.section	.rodata,"a",@progbits
	.p2align	6, 0x0
	.amdhsa_kernel _ZN9rocsparseL13coomvt_kernelILj1024Eld21rocsparse_complex_numIdES2_S2_EEv20rocsparse_operation_lNS_24const_host_device_scalarIT4_EEPKT0_S9_PKT1_PKT2_PT3_21rocsparse_index_base_b
		.amdhsa_group_segment_fixed_size 0
		.amdhsa_private_segment_fixed_size 0
		.amdhsa_kernarg_size 336
		.amdhsa_user_sgpr_count 6
		.amdhsa_user_sgpr_private_segment_buffer 1
		.amdhsa_user_sgpr_dispatch_ptr 0
		.amdhsa_user_sgpr_queue_ptr 0
		.amdhsa_user_sgpr_kernarg_segment_ptr 1
		.amdhsa_user_sgpr_dispatch_id 0
		.amdhsa_user_sgpr_flat_scratch_init 0
		.amdhsa_user_sgpr_private_segment_size 0
		.amdhsa_uses_dynamic_stack 0
		.amdhsa_system_sgpr_private_segment_wavefront_offset 0
		.amdhsa_system_sgpr_workgroup_id_x 1
		.amdhsa_system_sgpr_workgroup_id_y 0
		.amdhsa_system_sgpr_workgroup_id_z 0
		.amdhsa_system_sgpr_workgroup_info 0
		.amdhsa_system_vgpr_workitem_id 0
		.amdhsa_next_free_vgpr 21
		.amdhsa_next_free_sgpr 16
		.amdhsa_reserve_vcc 1
		.amdhsa_reserve_flat_scratch 0
		.amdhsa_float_round_mode_32 0
		.amdhsa_float_round_mode_16_64 0
		.amdhsa_float_denorm_mode_32 3
		.amdhsa_float_denorm_mode_16_64 3
		.amdhsa_dx10_clamp 1
		.amdhsa_ieee_mode 1
		.amdhsa_fp16_overflow 0
		.amdhsa_exception_fp_ieee_invalid_op 0
		.amdhsa_exception_fp_denorm_src 0
		.amdhsa_exception_fp_ieee_div_zero 0
		.amdhsa_exception_fp_ieee_overflow 0
		.amdhsa_exception_fp_ieee_underflow 0
		.amdhsa_exception_fp_ieee_inexact 0
		.amdhsa_exception_int_div_zero 0
	.end_amdhsa_kernel
	.section	.text._ZN9rocsparseL13coomvt_kernelILj1024Eld21rocsparse_complex_numIdES2_S2_EEv20rocsparse_operation_lNS_24const_host_device_scalarIT4_EEPKT0_S9_PKT1_PKT2_PT3_21rocsparse_index_base_b,"axG",@progbits,_ZN9rocsparseL13coomvt_kernelILj1024Eld21rocsparse_complex_numIdES2_S2_EEv20rocsparse_operation_lNS_24const_host_device_scalarIT4_EEPKT0_S9_PKT1_PKT2_PT3_21rocsparse_index_base_b,comdat
.Lfunc_end89:
	.size	_ZN9rocsparseL13coomvt_kernelILj1024Eld21rocsparse_complex_numIdES2_S2_EEv20rocsparse_operation_lNS_24const_host_device_scalarIT4_EEPKT0_S9_PKT1_PKT2_PT3_21rocsparse_index_base_b, .Lfunc_end89-_ZN9rocsparseL13coomvt_kernelILj1024Eld21rocsparse_complex_numIdES2_S2_EEv20rocsparse_operation_lNS_24const_host_device_scalarIT4_EEPKT0_S9_PKT1_PKT2_PT3_21rocsparse_index_base_b
                                        ; -- End function
	.set _ZN9rocsparseL13coomvt_kernelILj1024Eld21rocsparse_complex_numIdES2_S2_EEv20rocsparse_operation_lNS_24const_host_device_scalarIT4_EEPKT0_S9_PKT1_PKT2_PT3_21rocsparse_index_base_b.num_vgpr, 21
	.set _ZN9rocsparseL13coomvt_kernelILj1024Eld21rocsparse_complex_numIdES2_S2_EEv20rocsparse_operation_lNS_24const_host_device_scalarIT4_EEPKT0_S9_PKT1_PKT2_PT3_21rocsparse_index_base_b.num_agpr, 0
	.set _ZN9rocsparseL13coomvt_kernelILj1024Eld21rocsparse_complex_numIdES2_S2_EEv20rocsparse_operation_lNS_24const_host_device_scalarIT4_EEPKT0_S9_PKT1_PKT2_PT3_21rocsparse_index_base_b.numbered_sgpr, 16
	.set _ZN9rocsparseL13coomvt_kernelILj1024Eld21rocsparse_complex_numIdES2_S2_EEv20rocsparse_operation_lNS_24const_host_device_scalarIT4_EEPKT0_S9_PKT1_PKT2_PT3_21rocsparse_index_base_b.num_named_barrier, 0
	.set _ZN9rocsparseL13coomvt_kernelILj1024Eld21rocsparse_complex_numIdES2_S2_EEv20rocsparse_operation_lNS_24const_host_device_scalarIT4_EEPKT0_S9_PKT1_PKT2_PT3_21rocsparse_index_base_b.private_seg_size, 0
	.set _ZN9rocsparseL13coomvt_kernelILj1024Eld21rocsparse_complex_numIdES2_S2_EEv20rocsparse_operation_lNS_24const_host_device_scalarIT4_EEPKT0_S9_PKT1_PKT2_PT3_21rocsparse_index_base_b.uses_vcc, 1
	.set _ZN9rocsparseL13coomvt_kernelILj1024Eld21rocsparse_complex_numIdES2_S2_EEv20rocsparse_operation_lNS_24const_host_device_scalarIT4_EEPKT0_S9_PKT1_PKT2_PT3_21rocsparse_index_base_b.uses_flat_scratch, 0
	.set _ZN9rocsparseL13coomvt_kernelILj1024Eld21rocsparse_complex_numIdES2_S2_EEv20rocsparse_operation_lNS_24const_host_device_scalarIT4_EEPKT0_S9_PKT1_PKT2_PT3_21rocsparse_index_base_b.has_dyn_sized_stack, 0
	.set _ZN9rocsparseL13coomvt_kernelILj1024Eld21rocsparse_complex_numIdES2_S2_EEv20rocsparse_operation_lNS_24const_host_device_scalarIT4_EEPKT0_S9_PKT1_PKT2_PT3_21rocsparse_index_base_b.has_recursion, 0
	.set _ZN9rocsparseL13coomvt_kernelILj1024Eld21rocsparse_complex_numIdES2_S2_EEv20rocsparse_operation_lNS_24const_host_device_scalarIT4_EEPKT0_S9_PKT1_PKT2_PT3_21rocsparse_index_base_b.has_indirect_call, 0
	.section	.AMDGPU.csdata,"",@progbits
; Kernel info:
; codeLenInByte = 496
; TotalNumSgprs: 20
; NumVgprs: 21
; ScratchSize: 0
; MemoryBound: 0
; FloatMode: 240
; IeeeMode: 1
; LDSByteSize: 0 bytes/workgroup (compile time only)
; SGPRBlocks: 2
; VGPRBlocks: 5
; NumSGPRsForWavesPerEU: 20
; NumVGPRsForWavesPerEU: 21
; Occupancy: 10
; WaveLimiterHint : 1
; COMPUTE_PGM_RSRC2:SCRATCH_EN: 0
; COMPUTE_PGM_RSRC2:USER_SGPR: 6
; COMPUTE_PGM_RSRC2:TRAP_HANDLER: 0
; COMPUTE_PGM_RSRC2:TGID_X_EN: 1
; COMPUTE_PGM_RSRC2:TGID_Y_EN: 0
; COMPUTE_PGM_RSRC2:TGID_Z_EN: 0
; COMPUTE_PGM_RSRC2:TIDIG_COMP_CNT: 0
	.section	.text._ZN9rocsparseL19coomvn_atomic_loopsILj256ELj1Eld21rocsparse_complex_numIdES2_S2_EEvlNS_24const_host_device_scalarIT5_EEPKT1_S8_PKT2_PKT3_PT4_21rocsparse_index_base_b,"axG",@progbits,_ZN9rocsparseL19coomvn_atomic_loopsILj256ELj1Eld21rocsparse_complex_numIdES2_S2_EEvlNS_24const_host_device_scalarIT5_EEPKT1_S8_PKT2_PKT3_PT4_21rocsparse_index_base_b,comdat
	.globl	_ZN9rocsparseL19coomvn_atomic_loopsILj256ELj1Eld21rocsparse_complex_numIdES2_S2_EEvlNS_24const_host_device_scalarIT5_EEPKT1_S8_PKT2_PKT3_PT4_21rocsparse_index_base_b ; -- Begin function _ZN9rocsparseL19coomvn_atomic_loopsILj256ELj1Eld21rocsparse_complex_numIdES2_S2_EEvlNS_24const_host_device_scalarIT5_EEPKT1_S8_PKT2_PKT3_PT4_21rocsparse_index_base_b
	.p2align	8
	.type	_ZN9rocsparseL19coomvn_atomic_loopsILj256ELj1Eld21rocsparse_complex_numIdES2_S2_EEvlNS_24const_host_device_scalarIT5_EEPKT1_S8_PKT2_PKT3_PT4_21rocsparse_index_base_b,@function
_ZN9rocsparseL19coomvn_atomic_loopsILj256ELj1Eld21rocsparse_complex_numIdES2_S2_EEvlNS_24const_host_device_scalarIT5_EEPKT1_S8_PKT2_PKT3_PT4_21rocsparse_index_base_b: ; @_ZN9rocsparseL19coomvn_atomic_loopsILj256ELj1Eld21rocsparse_complex_numIdES2_S2_EEvlNS_24const_host_device_scalarIT5_EEPKT1_S8_PKT2_PKT3_PT4_21rocsparse_index_base_b
; %bb.0:
	s_load_dwordx2 s[2:3], s[4:5], 0x40
	s_load_dwordx4 s[8:11], s[4:5], 0x0
	s_or_b32 s0, s4, 8
	s_waitcnt lgkmcnt(0)
	s_bitcmp1_b32 s3, 0
	s_cselect_b32 s1, s5, s11
	s_cselect_b32 s0, s0, s10
	v_mov_b32_e32 v1, s0
	v_mov_b32_e32 v2, s1
	flat_load_dwordx4 v[1:4], v[1:2]
	s_waitcnt vmcnt(0) lgkmcnt(0)
	v_cmp_neq_f64_e32 vcc, 0, v[1:2]
	v_cmp_neq_f64_e64 s[0:1], 0, v[3:4]
	s_or_b64 s[0:1], vcc, s[0:1]
	s_and_saveexec_b64 s[10:11], s[0:1]
	s_cbranch_execz .LBB90_46
; %bb.1:
	v_mov_b32_e32 v5, 0
	v_lshl_or_b32 v9, s6, 8, v0
	v_mov_b32_e32 v10, 0
	v_mov_b32_e32 v6, 0
	v_cmp_gt_i64_e32 vcc, s[8:9], v[9:10]
	v_mov_b32_e32 v13, -1
	v_mov_b32_e32 v8, v6
	v_mov_b32_e32 v14, -1
	v_mov_b32_e32 v7, v5
	s_and_saveexec_b64 s[0:1], vcc
	s_cbranch_execz .LBB90_3
; %bb.2:
	s_load_dwordx8 s[8:15], s[4:5], 0x18
	v_lshlrev_b64 v[5:6], 3, v[9:10]
	s_mov_b32 s6, 0
	s_brev_b32 s7, 1
	s_waitcnt lgkmcnt(0)
	v_mov_b32_e32 v8, s11
	v_add_co_u32_e32 v7, vcc, s10, v5
	v_addc_co_u32_e32 v8, vcc, v8, v6, vcc
	global_load_dwordx2 v[7:8], v[7:8], off glc slc
	v_mov_b32_e32 v9, s13
	v_add_co_u32_e32 v11, vcc, s12, v5
	v_addc_co_u32_e32 v12, vcc, v9, v6, vcc
	v_mov_b32_e32 v10, s15
	s_waitcnt vmcnt(0)
	v_subrev_co_u32_e32 v7, vcc, s2, v7
	v_subbrev_co_u32_e32 v8, vcc, 0, v8, vcc
	v_lshlrev_b64 v[7:8], 4, v[7:8]
	v_add_co_u32_e32 v13, vcc, s14, v7
	v_addc_co_u32_e32 v14, vcc, v10, v8, vcc
	global_load_dwordx4 v[7:10], v[13:14], off
	global_load_dwordx2 v[15:16], v[11:12], off glc slc
	v_mov_b32_e32 v11, s9
	v_add_co_u32_e32 v5, vcc, s8, v5
	v_addc_co_u32_e32 v6, vcc, v11, v6, vcc
	global_load_dwordx2 v[11:12], v[5:6], off glc slc
	s_waitcnt vmcnt(2)
	v_mul_f64 v[5:6], v[9:10], s[6:7]
	s_waitcnt vmcnt(1)
	v_mul_f64 v[9:10], v[15:16], v[9:10]
	s_waitcnt vmcnt(0)
	v_subrev_co_u32_e32 v13, vcc, s2, v11
	v_fma_f64 v[5:6], v[15:16], v[7:8], v[5:6]
	v_fma_f64 v[7:8], v[7:8], 0, v[9:10]
	v_subbrev_co_u32_e32 v14, vcc, 0, v12, vcc
.LBB90_3:
	s_or_b64 exec, exec, s[0:1]
	v_lshlrev_b32_e32 v10, 3, v0
	v_or_b32_e32 v9, 0x1000, v10
	ds_write_b64 v10, v[13:14] offset:4096
	v_lshlrev_b32_e32 v10, 4, v0
	v_cmp_ne_u32_e32 vcc, 0, v0
	ds_write_b128 v10, v[5:8]
	s_waitcnt lgkmcnt(0)
	s_barrier
	s_and_saveexec_b64 s[0:1], vcc
	s_cbranch_execz .LBB90_7
; %bb.4:
	v_add_u32_e32 v11, -8, v9
	ds_read_b64 v[11:12], v11
	s_waitcnt lgkmcnt(0)
	v_cmp_eq_u64_e32 vcc, v[13:14], v[11:12]
	s_and_saveexec_b64 s[2:3], vcc
	s_cbranch_execz .LBB90_6
; %bb.5:
	v_add_u32_e32 v11, -16, v10
	ds_read_b128 v[15:18], v11
	s_waitcnt lgkmcnt(0)
	v_add_f64 v[5:6], v[5:6], v[15:16]
	v_add_f64 v[7:8], v[7:8], v[17:18]
.LBB90_6:
	s_or_b64 exec, exec, s[2:3]
.LBB90_7:
	s_or_b64 exec, exec, s[0:1]
	v_cmp_lt_u32_e32 vcc, 1, v0
	s_barrier
	ds_write_b128 v10, v[5:8]
	s_waitcnt lgkmcnt(0)
	s_barrier
	s_and_saveexec_b64 s[0:1], vcc
	s_cbranch_execz .LBB90_11
; %bb.8:
	v_add_u32_e32 v11, -16, v9
	ds_read_b64 v[11:12], v11
	s_waitcnt lgkmcnt(0)
	v_cmp_eq_u64_e32 vcc, v[13:14], v[11:12]
	s_and_saveexec_b64 s[2:3], vcc
	s_cbranch_execz .LBB90_10
; %bb.9:
	v_subrev_u32_e32 v11, 32, v10
	ds_read_b128 v[15:18], v11
	s_waitcnt lgkmcnt(0)
	v_add_f64 v[5:6], v[5:6], v[15:16]
	v_add_f64 v[7:8], v[7:8], v[17:18]
.LBB90_10:
	s_or_b64 exec, exec, s[2:3]
.LBB90_11:
	s_or_b64 exec, exec, s[0:1]
	v_cmp_lt_u32_e32 vcc, 3, v0
	s_barrier
	ds_write_b128 v10, v[5:8]
	s_waitcnt lgkmcnt(0)
	s_barrier
	s_and_saveexec_b64 s[0:1], vcc
	s_cbranch_execz .LBB90_15
; %bb.12:
	v_subrev_u32_e32 v11, 32, v9
	ds_read_b64 v[11:12], v11
	s_waitcnt lgkmcnt(0)
	v_cmp_eq_u64_e32 vcc, v[13:14], v[11:12]
	s_and_saveexec_b64 s[2:3], vcc
	s_cbranch_execz .LBB90_14
; %bb.13:
	v_subrev_u32_e32 v11, 64, v10
	ds_read_b128 v[15:18], v11
	s_waitcnt lgkmcnt(0)
	v_add_f64 v[5:6], v[5:6], v[15:16]
	v_add_f64 v[7:8], v[7:8], v[17:18]
.LBB90_14:
	s_or_b64 exec, exec, s[2:3]
.LBB90_15:
	s_or_b64 exec, exec, s[0:1]
	v_cmp_lt_u32_e32 vcc, 7, v0
	s_barrier
	ds_write_b128 v10, v[5:8]
	s_waitcnt lgkmcnt(0)
	s_barrier
	s_and_saveexec_b64 s[0:1], vcc
	s_cbranch_execz .LBB90_19
; %bb.16:
	v_subrev_u32_e32 v11, 64, v9
	ds_read_b64 v[11:12], v11
	s_waitcnt lgkmcnt(0)
	v_cmp_eq_u64_e32 vcc, v[13:14], v[11:12]
	s_and_saveexec_b64 s[2:3], vcc
	s_cbranch_execz .LBB90_18
; %bb.17:
	v_add_u32_e32 v11, 0xffffff80, v10
	ds_read_b128 v[15:18], v11
	s_waitcnt lgkmcnt(0)
	v_add_f64 v[5:6], v[5:6], v[15:16]
	v_add_f64 v[7:8], v[7:8], v[17:18]
.LBB90_18:
	s_or_b64 exec, exec, s[2:3]
.LBB90_19:
	s_or_b64 exec, exec, s[0:1]
	v_cmp_lt_u32_e32 vcc, 15, v0
	s_barrier
	ds_write_b128 v10, v[5:8]
	s_waitcnt lgkmcnt(0)
	s_barrier
	s_and_saveexec_b64 s[0:1], vcc
	s_cbranch_execz .LBB90_23
; %bb.20:
	v_add_u32_e32 v11, 0xffffff80, v9
	ds_read_b64 v[11:12], v11
	s_waitcnt lgkmcnt(0)
	v_cmp_eq_u64_e32 vcc, v[13:14], v[11:12]
	s_and_saveexec_b64 s[2:3], vcc
	s_cbranch_execz .LBB90_22
; %bb.21:
	v_add_u32_e32 v11, 0xffffff00, v10
	ds_read_b128 v[15:18], v11
	s_waitcnt lgkmcnt(0)
	v_add_f64 v[5:6], v[5:6], v[15:16]
	v_add_f64 v[7:8], v[7:8], v[17:18]
.LBB90_22:
	s_or_b64 exec, exec, s[2:3]
.LBB90_23:
	s_or_b64 exec, exec, s[0:1]
	v_cmp_lt_u32_e32 vcc, 31, v0
	s_barrier
	ds_write_b128 v10, v[5:8]
	s_waitcnt lgkmcnt(0)
	s_barrier
	s_and_saveexec_b64 s[0:1], vcc
	s_cbranch_execz .LBB90_27
; %bb.24:
	v_add_u32_e32 v11, 0xffffff00, v9
	ds_read_b64 v[11:12], v11
	s_waitcnt lgkmcnt(0)
	v_cmp_eq_u64_e32 vcc, v[13:14], v[11:12]
	s_and_saveexec_b64 s[2:3], vcc
	s_cbranch_execz .LBB90_26
; %bb.25:
	v_add_u32_e32 v11, 0xfffffe00, v10
	ds_read_b128 v[15:18], v11
	s_waitcnt lgkmcnt(0)
	v_add_f64 v[5:6], v[5:6], v[15:16]
	v_add_f64 v[7:8], v[7:8], v[17:18]
.LBB90_26:
	s_or_b64 exec, exec, s[2:3]
.LBB90_27:
	;; [unrolled: 24-line block ×3, first 2 shown]
	s_or_b64 exec, exec, s[0:1]
	s_load_dwordx2 s[2:3], s[4:5], 0x38
	s_movk_i32 s0, 0x7f
	v_cmp_lt_u32_e32 vcc, s0, v0
	s_waitcnt lgkmcnt(0)
	s_barrier
	ds_write_b128 v10, v[5:8]
	s_waitcnt lgkmcnt(0)
	s_barrier
	s_and_saveexec_b64 s[0:1], vcc
	s_cbranch_execz .LBB90_35
; %bb.32:
	v_add_u32_e32 v11, 0xfffffc00, v9
	ds_read_b64 v[11:12], v11
	s_waitcnt lgkmcnt(0)
	v_cmp_eq_u64_e32 vcc, v[13:14], v[11:12]
	s_and_saveexec_b64 s[4:5], vcc
	s_cbranch_execz .LBB90_34
; %bb.33:
	v_add_u32_e32 v11, 0xfffff800, v10
	ds_read_b128 v[15:18], v11
	s_waitcnt lgkmcnt(0)
	v_add_f64 v[5:6], v[5:6], v[15:16]
	v_add_f64 v[7:8], v[7:8], v[17:18]
.LBB90_34:
	s_or_b64 exec, exec, s[4:5]
.LBB90_35:
	s_or_b64 exec, exec, s[0:1]
	s_movk_i32 s6, 0xff
	v_cmp_gt_u32_e32 vcc, s6, v0
	s_barrier
	ds_write_b128 v10, v[5:8]
	s_waitcnt lgkmcnt(0)
	s_barrier
	s_and_saveexec_b64 s[4:5], vcc
	s_cbranch_execz .LBB90_41
; %bb.36:
	ds_read_b64 v[9:10], v9 offset:8
	v_cmp_lt_i64_e64 s[0:1], -1, v[13:14]
	s_waitcnt lgkmcnt(0)
	v_cmp_ne_u64_e32 vcc, v[13:14], v[9:10]
	s_and_b64 s[0:1], s[0:1], vcc
	s_and_b64 exec, exec, s[0:1]
	s_cbranch_execz .LBB90_41
; %bb.37:
	v_lshlrev_b64 v[9:10], 4, v[13:14]
	v_mov_b32_e32 v11, s3
	v_add_co_u32_e32 v15, vcc, s2, v9
	v_addc_co_u32_e32 v16, vcc, v11, v10, vcc
	global_load_dwordx2 v[11:12], v[15:16], off
	v_mul_f64 v[9:10], v[7:8], -v[3:4]
	s_mov_b64 s[0:1], 0
	v_fma_f64 v[17:18], v[1:2], v[5:6], v[9:10]
.LBB90_38:                              ; =>This Inner Loop Header: Depth=1
	s_waitcnt vmcnt(0)
	v_add_f64 v[9:10], v[11:12], v[17:18]
	global_atomic_cmpswap_x2 v[9:10], v[15:16], v[9:12], off glc
	s_waitcnt vmcnt(0)
	v_cmp_eq_u64_e32 vcc, v[9:10], v[11:12]
	v_mov_b32_e32 v12, v10
	s_or_b64 s[0:1], vcc, s[0:1]
	v_mov_b32_e32 v11, v9
	s_andn2_b64 exec, exec, s[0:1]
	s_cbranch_execnz .LBB90_38
; %bb.39:
	s_or_b64 exec, exec, s[0:1]
	global_load_dwordx2 v[11:12], v[15:16], off offset:8
	v_mul_f64 v[9:10], v[1:2], v[7:8]
	s_mov_b64 s[0:1], 0
	v_fma_f64 v[17:18], v[3:4], v[5:6], v[9:10]
.LBB90_40:                              ; =>This Inner Loop Header: Depth=1
	s_waitcnt vmcnt(0)
	v_add_f64 v[9:10], v[11:12], v[17:18]
	global_atomic_cmpswap_x2 v[9:10], v[15:16], v[9:12], off offset:8 glc
	s_waitcnt vmcnt(0)
	v_cmp_eq_u64_e32 vcc, v[9:10], v[11:12]
	v_mov_b32_e32 v12, v10
	s_or_b64 s[0:1], vcc, s[0:1]
	v_mov_b32_e32 v11, v9
	s_andn2_b64 exec, exec, s[0:1]
	s_cbranch_execnz .LBB90_40
.LBB90_41:
	s_or_b64 exec, exec, s[4:5]
	v_cmp_lt_i64_e32 vcc, -1, v[13:14]
	v_cmp_eq_u32_e64 s[0:1], s6, v0
	s_and_b64 s[0:1], s[0:1], vcc
	s_and_b64 exec, exec, s[0:1]
	s_cbranch_execz .LBB90_46
; %bb.42:
	v_lshlrev_b64 v[9:10], 4, v[13:14]
	v_mov_b32_e32 v0, s3
	v_add_co_u32_e32 v13, vcc, s2, v9
	v_addc_co_u32_e32 v14, vcc, v0, v10, vcc
	global_load_dwordx2 v[11:12], v[13:14], off
	v_mul_f64 v[9:10], v[7:8], -v[3:4]
	s_mov_b64 s[0:1], 0
	v_fma_f64 v[15:16], v[1:2], v[5:6], v[9:10]
.LBB90_43:                              ; =>This Inner Loop Header: Depth=1
	s_waitcnt vmcnt(0)
	v_add_f64 v[9:10], v[11:12], v[15:16]
	global_atomic_cmpswap_x2 v[9:10], v[13:14], v[9:12], off glc
	s_waitcnt vmcnt(0)
	v_cmp_eq_u64_e32 vcc, v[9:10], v[11:12]
	v_mov_b32_e32 v12, v10
	s_or_b64 s[0:1], vcc, s[0:1]
	v_mov_b32_e32 v11, v9
	s_andn2_b64 exec, exec, s[0:1]
	s_cbranch_execnz .LBB90_43
; %bb.44:
	s_or_b64 exec, exec, s[0:1]
	global_load_dwordx2 v[9:10], v[13:14], off offset:8
	v_mul_f64 v[0:1], v[1:2], v[7:8]
	s_mov_b64 s[0:1], 0
	v_fma_f64 v[0:1], v[3:4], v[5:6], v[0:1]
.LBB90_45:                              ; =>This Inner Loop Header: Depth=1
	s_waitcnt vmcnt(0)
	v_add_f64 v[7:8], v[9:10], v[0:1]
	global_atomic_cmpswap_x2 v[2:3], v[13:14], v[7:10], off offset:8 glc
	s_waitcnt vmcnt(0)
	v_cmp_eq_u64_e32 vcc, v[2:3], v[9:10]
	v_mov_b32_e32 v10, v3
	s_or_b64 s[0:1], vcc, s[0:1]
	v_mov_b32_e32 v9, v2
	s_andn2_b64 exec, exec, s[0:1]
	s_cbranch_execnz .LBB90_45
.LBB90_46:
	s_endpgm
	.section	.rodata,"a",@progbits
	.p2align	6, 0x0
	.amdhsa_kernel _ZN9rocsparseL19coomvn_atomic_loopsILj256ELj1Eld21rocsparse_complex_numIdES2_S2_EEvlNS_24const_host_device_scalarIT5_EEPKT1_S8_PKT2_PKT3_PT4_21rocsparse_index_base_b
		.amdhsa_group_segment_fixed_size 6144
		.amdhsa_private_segment_fixed_size 0
		.amdhsa_kernarg_size 72
		.amdhsa_user_sgpr_count 6
		.amdhsa_user_sgpr_private_segment_buffer 1
		.amdhsa_user_sgpr_dispatch_ptr 0
		.amdhsa_user_sgpr_queue_ptr 0
		.amdhsa_user_sgpr_kernarg_segment_ptr 1
		.amdhsa_user_sgpr_dispatch_id 0
		.amdhsa_user_sgpr_flat_scratch_init 0
		.amdhsa_user_sgpr_private_segment_size 0
		.amdhsa_uses_dynamic_stack 0
		.amdhsa_system_sgpr_private_segment_wavefront_offset 0
		.amdhsa_system_sgpr_workgroup_id_x 1
		.amdhsa_system_sgpr_workgroup_id_y 0
		.amdhsa_system_sgpr_workgroup_id_z 0
		.amdhsa_system_sgpr_workgroup_info 0
		.amdhsa_system_vgpr_workitem_id 0
		.amdhsa_next_free_vgpr 19
		.amdhsa_next_free_sgpr 16
		.amdhsa_reserve_vcc 1
		.amdhsa_reserve_flat_scratch 0
		.amdhsa_float_round_mode_32 0
		.amdhsa_float_round_mode_16_64 0
		.amdhsa_float_denorm_mode_32 3
		.amdhsa_float_denorm_mode_16_64 3
		.amdhsa_dx10_clamp 1
		.amdhsa_ieee_mode 1
		.amdhsa_fp16_overflow 0
		.amdhsa_exception_fp_ieee_invalid_op 0
		.amdhsa_exception_fp_denorm_src 0
		.amdhsa_exception_fp_ieee_div_zero 0
		.amdhsa_exception_fp_ieee_overflow 0
		.amdhsa_exception_fp_ieee_underflow 0
		.amdhsa_exception_fp_ieee_inexact 0
		.amdhsa_exception_int_div_zero 0
	.end_amdhsa_kernel
	.section	.text._ZN9rocsparseL19coomvn_atomic_loopsILj256ELj1Eld21rocsparse_complex_numIdES2_S2_EEvlNS_24const_host_device_scalarIT5_EEPKT1_S8_PKT2_PKT3_PT4_21rocsparse_index_base_b,"axG",@progbits,_ZN9rocsparseL19coomvn_atomic_loopsILj256ELj1Eld21rocsparse_complex_numIdES2_S2_EEvlNS_24const_host_device_scalarIT5_EEPKT1_S8_PKT2_PKT3_PT4_21rocsparse_index_base_b,comdat
.Lfunc_end90:
	.size	_ZN9rocsparseL19coomvn_atomic_loopsILj256ELj1Eld21rocsparse_complex_numIdES2_S2_EEvlNS_24const_host_device_scalarIT5_EEPKT1_S8_PKT2_PKT3_PT4_21rocsparse_index_base_b, .Lfunc_end90-_ZN9rocsparseL19coomvn_atomic_loopsILj256ELj1Eld21rocsparse_complex_numIdES2_S2_EEvlNS_24const_host_device_scalarIT5_EEPKT1_S8_PKT2_PKT3_PT4_21rocsparse_index_base_b
                                        ; -- End function
	.set _ZN9rocsparseL19coomvn_atomic_loopsILj256ELj1Eld21rocsparse_complex_numIdES2_S2_EEvlNS_24const_host_device_scalarIT5_EEPKT1_S8_PKT2_PKT3_PT4_21rocsparse_index_base_b.num_vgpr, 19
	.set _ZN9rocsparseL19coomvn_atomic_loopsILj256ELj1Eld21rocsparse_complex_numIdES2_S2_EEvlNS_24const_host_device_scalarIT5_EEPKT1_S8_PKT2_PKT3_PT4_21rocsparse_index_base_b.num_agpr, 0
	.set _ZN9rocsparseL19coomvn_atomic_loopsILj256ELj1Eld21rocsparse_complex_numIdES2_S2_EEvlNS_24const_host_device_scalarIT5_EEPKT1_S8_PKT2_PKT3_PT4_21rocsparse_index_base_b.numbered_sgpr, 16
	.set _ZN9rocsparseL19coomvn_atomic_loopsILj256ELj1Eld21rocsparse_complex_numIdES2_S2_EEvlNS_24const_host_device_scalarIT5_EEPKT1_S8_PKT2_PKT3_PT4_21rocsparse_index_base_b.num_named_barrier, 0
	.set _ZN9rocsparseL19coomvn_atomic_loopsILj256ELj1Eld21rocsparse_complex_numIdES2_S2_EEvlNS_24const_host_device_scalarIT5_EEPKT1_S8_PKT2_PKT3_PT4_21rocsparse_index_base_b.private_seg_size, 0
	.set _ZN9rocsparseL19coomvn_atomic_loopsILj256ELj1Eld21rocsparse_complex_numIdES2_S2_EEvlNS_24const_host_device_scalarIT5_EEPKT1_S8_PKT2_PKT3_PT4_21rocsparse_index_base_b.uses_vcc, 1
	.set _ZN9rocsparseL19coomvn_atomic_loopsILj256ELj1Eld21rocsparse_complex_numIdES2_S2_EEvlNS_24const_host_device_scalarIT5_EEPKT1_S8_PKT2_PKT3_PT4_21rocsparse_index_base_b.uses_flat_scratch, 0
	.set _ZN9rocsparseL19coomvn_atomic_loopsILj256ELj1Eld21rocsparse_complex_numIdES2_S2_EEvlNS_24const_host_device_scalarIT5_EEPKT1_S8_PKT2_PKT3_PT4_21rocsparse_index_base_b.has_dyn_sized_stack, 0
	.set _ZN9rocsparseL19coomvn_atomic_loopsILj256ELj1Eld21rocsparse_complex_numIdES2_S2_EEvlNS_24const_host_device_scalarIT5_EEPKT1_S8_PKT2_PKT3_PT4_21rocsparse_index_base_b.has_recursion, 0
	.set _ZN9rocsparseL19coomvn_atomic_loopsILj256ELj1Eld21rocsparse_complex_numIdES2_S2_EEvlNS_24const_host_device_scalarIT5_EEPKT1_S8_PKT2_PKT3_PT4_21rocsparse_index_base_b.has_indirect_call, 0
	.section	.AMDGPU.csdata,"",@progbits
; Kernel info:
; codeLenInByte = 1640
; TotalNumSgprs: 20
; NumVgprs: 19
; ScratchSize: 0
; MemoryBound: 1
; FloatMode: 240
; IeeeMode: 1
; LDSByteSize: 6144 bytes/workgroup (compile time only)
; SGPRBlocks: 2
; VGPRBlocks: 4
; NumSGPRsForWavesPerEU: 20
; NumVGPRsForWavesPerEU: 19
; Occupancy: 10
; WaveLimiterHint : 1
; COMPUTE_PGM_RSRC2:SCRATCH_EN: 0
; COMPUTE_PGM_RSRC2:USER_SGPR: 6
; COMPUTE_PGM_RSRC2:TRAP_HANDLER: 0
; COMPUTE_PGM_RSRC2:TGID_X_EN: 1
; COMPUTE_PGM_RSRC2:TGID_Y_EN: 0
; COMPUTE_PGM_RSRC2:TGID_Z_EN: 0
; COMPUTE_PGM_RSRC2:TIDIG_COMP_CNT: 0
	.section	.text._ZN9rocsparseL19coomvn_atomic_loopsILj256ELj2Eld21rocsparse_complex_numIdES2_S2_EEvlNS_24const_host_device_scalarIT5_EEPKT1_S8_PKT2_PKT3_PT4_21rocsparse_index_base_b,"axG",@progbits,_ZN9rocsparseL19coomvn_atomic_loopsILj256ELj2Eld21rocsparse_complex_numIdES2_S2_EEvlNS_24const_host_device_scalarIT5_EEPKT1_S8_PKT2_PKT3_PT4_21rocsparse_index_base_b,comdat
	.globl	_ZN9rocsparseL19coomvn_atomic_loopsILj256ELj2Eld21rocsparse_complex_numIdES2_S2_EEvlNS_24const_host_device_scalarIT5_EEPKT1_S8_PKT2_PKT3_PT4_21rocsparse_index_base_b ; -- Begin function _ZN9rocsparseL19coomvn_atomic_loopsILj256ELj2Eld21rocsparse_complex_numIdES2_S2_EEvlNS_24const_host_device_scalarIT5_EEPKT1_S8_PKT2_PKT3_PT4_21rocsparse_index_base_b
	.p2align	8
	.type	_ZN9rocsparseL19coomvn_atomic_loopsILj256ELj2Eld21rocsparse_complex_numIdES2_S2_EEvlNS_24const_host_device_scalarIT5_EEPKT1_S8_PKT2_PKT3_PT4_21rocsparse_index_base_b,@function
_ZN9rocsparseL19coomvn_atomic_loopsILj256ELj2Eld21rocsparse_complex_numIdES2_S2_EEvlNS_24const_host_device_scalarIT5_EEPKT1_S8_PKT2_PKT3_PT4_21rocsparse_index_base_b: ; @_ZN9rocsparseL19coomvn_atomic_loopsILj256ELj2Eld21rocsparse_complex_numIdES2_S2_EEvlNS_24const_host_device_scalarIT5_EEPKT1_S8_PKT2_PKT3_PT4_21rocsparse_index_base_b
; %bb.0:
	s_load_dwordx2 s[34:35], s[4:5], 0x40
	s_load_dwordx4 s[36:39], s[4:5], 0x0
	s_or_b32 s0, s4, 8
	s_waitcnt lgkmcnt(0)
	s_bitcmp1_b32 s35, 0
	s_cselect_b32 s1, s5, s39
	s_cselect_b32 s0, s0, s38
	v_mov_b32_e32 v1, s0
	v_mov_b32_e32 v2, s1
	flat_load_dwordx4 v[1:4], v[1:2]
	s_waitcnt vmcnt(0) lgkmcnt(0)
	v_cmp_neq_f64_e32 vcc, 0, v[1:2]
	v_cmp_neq_f64_e64 s[0:1], 0, v[3:4]
	s_or_b64 s[0:1], vcc, s[0:1]
	s_and_saveexec_b64 s[2:3], s[0:1]
	s_cbranch_execz .LBB91_105
; %bb.1:
	s_load_dwordx8 s[24:31], s[4:5], 0x18
	v_mov_b32_e32 v5, 0
	v_lshl_or_b32 v15, s6, 9, v0
	v_mov_b32_e32 v16, 0
	v_mov_b32_e32 v6, 0
	v_cmp_gt_i64_e32 vcc, s[36:37], v[15:16]
	v_mov_b32_e32 v9, -1
	v_lshlrev_b64 v[13:14], 3, v[15:16]
	v_mov_b32_e32 v8, v6
	v_mov_b32_e32 v10, -1
	v_mov_b32_e32 v7, v5
	s_and_saveexec_b64 s[0:1], vcc
	s_cbranch_execz .LBB91_3
; %bb.2:
	s_waitcnt lgkmcnt(0)
	v_mov_b32_e32 v6, s27
	v_add_co_u32_e32 v5, vcc, s26, v13
	v_addc_co_u32_e32 v6, vcc, v6, v14, vcc
	global_load_dwordx2 v[5:6], v[5:6], off glc slc
	v_mov_b32_e32 v7, s29
	v_add_co_u32_e32 v11, vcc, s28, v13
	v_addc_co_u32_e32 v12, vcc, v7, v14, vcc
	v_mov_b32_e32 v8, s31
	s_mov_b32 s2, 0
	s_brev_b32 s3, 1
	s_waitcnt vmcnt(0)
	v_subrev_co_u32_e32 v5, vcc, s34, v5
	v_subbrev_co_u32_e32 v6, vcc, 0, v6, vcc
	v_lshlrev_b64 v[5:6], 4, v[5:6]
	v_add_co_u32_e32 v5, vcc, s30, v5
	v_addc_co_u32_e32 v6, vcc, v8, v6, vcc
	global_load_dwordx4 v[7:10], v[5:6], off
	global_load_dwordx2 v[16:17], v[11:12], off glc slc
	v_mov_b32_e32 v6, s25
	v_add_co_u32_e32 v5, vcc, s24, v13
	v_addc_co_u32_e32 v6, vcc, v6, v14, vcc
	global_load_dwordx2 v[11:12], v[5:6], off glc slc
	s_waitcnt vmcnt(2)
	v_mul_f64 v[5:6], v[9:10], s[2:3]
	s_waitcnt vmcnt(1)
	v_mul_f64 v[9:10], v[16:17], v[9:10]
	v_fma_f64 v[5:6], v[16:17], v[7:8], v[5:6]
	v_fma_f64 v[7:8], v[7:8], 0, v[9:10]
	s_waitcnt vmcnt(0)
	v_subrev_co_u32_e32 v9, vcc, s34, v11
	v_subbrev_co_u32_e32 v10, vcc, 0, v12, vcc
.LBB91_3:
	s_or_b64 exec, exec, s[0:1]
	v_lshlrev_b32_e32 v11, 3, v0
	v_or_b32_e32 v23, 0x1000, v11
	v_lshlrev_b32_e32 v24, 4, v0
	v_cmp_eq_u32_e64 s[18:19], 0, v0
	v_cmp_ne_u32_e64 s[0:1], 0, v0
	v_add_u32_e32 v25, -8, v23
	ds_write_b64 v11, v[9:10] offset:4096
	ds_write_b128 v24, v[5:8]
	s_waitcnt lgkmcnt(0)
	s_barrier
	s_and_saveexec_b64 s[2:3], s[0:1]
	s_cbranch_execz .LBB91_7
; %bb.4:
	ds_read_b64 v[11:12], v25
	s_waitcnt lgkmcnt(0)
	v_cmp_eq_u64_e32 vcc, v[9:10], v[11:12]
	s_and_saveexec_b64 s[6:7], vcc
	s_cbranch_execz .LBB91_6
; %bb.5:
	v_add_u32_e32 v11, -16, v24
	ds_read_b128 v[16:19], v11
	s_waitcnt lgkmcnt(0)
	v_add_f64 v[5:6], v[5:6], v[16:17]
	v_add_f64 v[7:8], v[7:8], v[18:19]
.LBB91_6:
	s_or_b64 exec, exec, s[6:7]
.LBB91_7:
	s_or_b64 exec, exec, s[2:3]
	v_cmp_lt_u32_e64 s[2:3], 1, v0
	v_add_u32_e32 v26, -16, v23
	s_barrier
	ds_write_b128 v24, v[5:8]
	s_waitcnt lgkmcnt(0)
	s_barrier
	s_and_saveexec_b64 s[6:7], s[2:3]
	s_cbranch_execz .LBB91_11
; %bb.8:
	ds_read_b64 v[11:12], v26
	s_waitcnt lgkmcnt(0)
	v_cmp_eq_u64_e32 vcc, v[9:10], v[11:12]
	s_and_saveexec_b64 s[8:9], vcc
	s_cbranch_execz .LBB91_10
; %bb.9:
	v_subrev_u32_e32 v11, 32, v24
	ds_read_b128 v[16:19], v11
	s_waitcnt lgkmcnt(0)
	v_add_f64 v[5:6], v[5:6], v[16:17]
	v_add_f64 v[7:8], v[7:8], v[18:19]
.LBB91_10:
	s_or_b64 exec, exec, s[8:9]
.LBB91_11:
	s_or_b64 exec, exec, s[6:7]
	v_cmp_lt_u32_e64 s[20:21], 3, v0
	v_subrev_u32_e32 v27, 32, v23
	s_barrier
	ds_write_b128 v24, v[5:8]
	s_waitcnt lgkmcnt(0)
	s_barrier
	s_and_saveexec_b64 s[6:7], s[20:21]
	s_cbranch_execz .LBB91_15
; %bb.12:
	ds_read_b64 v[11:12], v27
	s_waitcnt lgkmcnt(0)
	v_cmp_eq_u64_e32 vcc, v[9:10], v[11:12]
	s_and_saveexec_b64 s[8:9], vcc
	s_cbranch_execz .LBB91_14
; %bb.13:
	v_subrev_u32_e32 v11, 64, v24
	ds_read_b128 v[16:19], v11
	s_waitcnt lgkmcnt(0)
	v_add_f64 v[5:6], v[5:6], v[16:17]
	v_add_f64 v[7:8], v[7:8], v[18:19]
.LBB91_14:
	s_or_b64 exec, exec, s[8:9]
.LBB91_15:
	s_or_b64 exec, exec, s[6:7]
	v_cmp_lt_u32_e64 s[6:7], 7, v0
	v_subrev_u32_e32 v28, 64, v23
	s_barrier
	ds_write_b128 v24, v[5:8]
	s_waitcnt lgkmcnt(0)
	s_barrier
	s_and_saveexec_b64 s[8:9], s[6:7]
	s_cbranch_execz .LBB91_19
; %bb.16:
	ds_read_b64 v[11:12], v28
	s_waitcnt lgkmcnt(0)
	v_cmp_eq_u64_e32 vcc, v[9:10], v[11:12]
	s_and_saveexec_b64 s[10:11], vcc
	s_cbranch_execz .LBB91_18
; %bb.17:
	v_add_u32_e32 v11, 0xffffff80, v24
	ds_read_b128 v[16:19], v11
	s_waitcnt lgkmcnt(0)
	v_add_f64 v[5:6], v[5:6], v[16:17]
	v_add_f64 v[7:8], v[7:8], v[18:19]
.LBB91_18:
	s_or_b64 exec, exec, s[10:11]
.LBB91_19:
	s_or_b64 exec, exec, s[8:9]
	v_cmp_lt_u32_e64 s[8:9], 15, v0
	s_barrier
	ds_write_b128 v24, v[5:8]
	s_waitcnt lgkmcnt(0)
	s_barrier
	s_and_saveexec_b64 s[10:11], s[8:9]
	s_cbranch_execz .LBB91_23
; %bb.20:
	v_add_u32_e32 v11, 0xffffff80, v23
	ds_read_b64 v[11:12], v11
	s_waitcnt lgkmcnt(0)
	v_cmp_eq_u64_e32 vcc, v[9:10], v[11:12]
	s_and_saveexec_b64 s[12:13], vcc
	s_cbranch_execz .LBB91_22
; %bb.21:
	v_add_u32_e32 v11, 0xffffff00, v24
	ds_read_b128 v[16:19], v11
	s_waitcnt lgkmcnt(0)
	v_add_f64 v[5:6], v[5:6], v[16:17]
	v_add_f64 v[7:8], v[7:8], v[18:19]
.LBB91_22:
	s_or_b64 exec, exec, s[12:13]
.LBB91_23:
	s_or_b64 exec, exec, s[10:11]
	v_cmp_lt_u32_e64 s[10:11], 31, v0
	s_barrier
	ds_write_b128 v24, v[5:8]
	s_waitcnt lgkmcnt(0)
	s_barrier
	s_and_saveexec_b64 s[12:13], s[10:11]
	s_cbranch_execz .LBB91_27
; %bb.24:
	v_add_u32_e32 v11, 0xffffff00, v23
	ds_read_b64 v[11:12], v11
	s_waitcnt lgkmcnt(0)
	v_cmp_eq_u64_e32 vcc, v[9:10], v[11:12]
	s_and_saveexec_b64 s[14:15], vcc
	s_cbranch_execz .LBB91_26
; %bb.25:
	v_add_u32_e32 v11, 0xfffffe00, v24
	ds_read_b128 v[16:19], v11
	s_waitcnt lgkmcnt(0)
	v_add_f64 v[5:6], v[5:6], v[16:17]
	v_add_f64 v[7:8], v[7:8], v[18:19]
.LBB91_26:
	s_or_b64 exec, exec, s[14:15]
.LBB91_27:
	;; [unrolled: 24-line block ×3, first 2 shown]
	s_or_b64 exec, exec, s[14:15]
	s_load_dwordx2 s[22:23], s[4:5], 0x38
	s_movk_i32 s4, 0x7f
	v_cmp_lt_u32_e64 s[14:15], s4, v0
	s_waitcnt lgkmcnt(0)
	s_barrier
	ds_write_b128 v24, v[5:8]
	s_waitcnt lgkmcnt(0)
	s_barrier
	s_and_saveexec_b64 s[4:5], s[14:15]
	s_cbranch_execz .LBB91_35
; %bb.32:
	v_add_u32_e32 v11, 0xfffffc00, v23
	ds_read_b64 v[11:12], v11
	s_waitcnt lgkmcnt(0)
	v_cmp_eq_u64_e32 vcc, v[9:10], v[11:12]
	s_and_saveexec_b64 s[16:17], vcc
	s_cbranch_execz .LBB91_34
; %bb.33:
	v_add_u32_e32 v11, 0xfffff800, v24
	ds_read_b128 v[16:19], v11
	s_waitcnt lgkmcnt(0)
	v_add_f64 v[5:6], v[5:6], v[16:17]
	v_add_f64 v[7:8], v[7:8], v[18:19]
.LBB91_34:
	s_or_b64 exec, exec, s[16:17]
.LBB91_35:
	s_or_b64 exec, exec, s[4:5]
	s_movk_i32 s4, 0xff
	v_cmp_gt_u32_e64 s[16:17], s4, v0
	s_barrier
	ds_write_b128 v24, v[5:8]
	s_waitcnt lgkmcnt(0)
	s_barrier
	s_and_saveexec_b64 s[38:39], s[16:17]
	s_cbranch_execz .LBB91_41
; %bb.36:
	ds_read_b64 v[11:12], v23 offset:8
	v_cmp_lt_i64_e64 s[4:5], -1, v[9:10]
	s_waitcnt lgkmcnt(0)
	v_cmp_ne_u64_e32 vcc, v[9:10], v[11:12]
	s_and_b64 s[4:5], s[4:5], vcc
	s_and_b64 exec, exec, s[4:5]
	s_cbranch_execz .LBB91_41
; %bb.37:
	v_lshlrev_b64 v[9:10], 4, v[9:10]
	v_mov_b32_e32 v11, s23
	v_add_co_u32_e32 v16, vcc, s22, v9
	v_addc_co_u32_e32 v17, vcc, v11, v10, vcc
	global_load_dwordx2 v[11:12], v[16:17], off
	v_mul_f64 v[9:10], v[7:8], -v[3:4]
	s_mov_b64 s[4:5], 0
	v_fma_f64 v[18:19], v[1:2], v[5:6], v[9:10]
.LBB91_38:                              ; =>This Inner Loop Header: Depth=1
	s_waitcnt vmcnt(0)
	v_add_f64 v[9:10], v[11:12], v[18:19]
	global_atomic_cmpswap_x2 v[9:10], v[16:17], v[9:12], off glc
	s_waitcnt vmcnt(0)
	v_cmp_eq_u64_e32 vcc, v[9:10], v[11:12]
	v_mov_b32_e32 v12, v10
	s_or_b64 s[4:5], vcc, s[4:5]
	v_mov_b32_e32 v11, v9
	s_andn2_b64 exec, exec, s[4:5]
	s_cbranch_execnz .LBB91_38
; %bb.39:
	s_or_b64 exec, exec, s[4:5]
	global_load_dwordx2 v[9:10], v[16:17], off offset:8
	v_mul_f64 v[7:8], v[1:2], v[7:8]
	s_mov_b64 s[4:5], 0
	v_fma_f64 v[5:6], v[3:4], v[5:6], v[7:8]
.LBB91_40:                              ; =>This Inner Loop Header: Depth=1
	s_waitcnt vmcnt(0)
	v_add_f64 v[7:8], v[9:10], v[5:6]
	global_atomic_cmpswap_x2 v[7:8], v[16:17], v[7:10], off offset:8 glc
	s_waitcnt vmcnt(0)
	v_cmp_eq_u64_e32 vcc, v[7:8], v[9:10]
	v_mov_b32_e32 v10, v8
	s_or_b64 s[4:5], vcc, s[4:5]
	v_mov_b32_e32 v9, v7
	s_andn2_b64 exec, exec, s[4:5]
	s_cbranch_execnz .LBB91_40
.LBB91_41:
	s_or_b64 exec, exec, s[38:39]
	v_add_co_u32_e32 v5, vcc, 0x100, v15
	v_addc_co_u32_e64 v6, s[4:5], 0, 0, vcc
	v_cmp_gt_i64_e32 vcc, s[36:37], v[5:6]
	v_mov_b32_e32 v17, -1
	v_mov_b32_e32 v5, 0
	v_mov_b32_e32 v7, 0
	v_mov_b32_e32 v18, -1
	v_mov_b32_e32 v6, 0
	v_mov_b32_e32 v8, 0
	s_and_saveexec_b64 s[4:5], vcc
	s_cbranch_execz .LBB91_43
; %bb.42:
	v_mov_b32_e32 v6, s27
	v_add_co_u32_e32 v5, vcc, s26, v13
	v_addc_co_u32_e32 v6, vcc, v6, v14, vcc
	global_load_dwordx2 v[5:6], v[5:6], off offset:2048 glc slc
	v_mov_b32_e32 v7, s29
	v_add_co_u32_e32 v11, vcc, s28, v13
	v_addc_co_u32_e32 v12, vcc, v7, v14, vcc
	v_mov_b32_e32 v8, s31
	s_waitcnt vmcnt(0)
	v_subrev_co_u32_e32 v5, vcc, s34, v5
	v_subbrev_co_u32_e32 v6, vcc, 0, v6, vcc
	v_lshlrev_b64 v[5:6], 4, v[5:6]
	v_add_co_u32_e32 v5, vcc, s30, v5
	v_addc_co_u32_e32 v6, vcc, v8, v6, vcc
	global_load_dwordx4 v[7:10], v[5:6], off
	global_load_dwordx2 v[15:16], v[11:12], off offset:2048 glc slc
	v_mov_b32_e32 v6, s25
	v_add_co_u32_e32 v5, vcc, s24, v13
	v_addc_co_u32_e32 v6, vcc, v6, v14, vcc
	global_load_dwordx2 v[11:12], v[5:6], off offset:2048 glc slc
	s_mov_b32 s24, 0
	s_brev_b32 s25, 1
	s_waitcnt vmcnt(2)
	v_mul_f64 v[5:6], v[9:10], s[24:25]
	s_waitcnt vmcnt(1)
	v_mul_f64 v[9:10], v[15:16], v[9:10]
	s_waitcnt vmcnt(0)
	v_subrev_co_u32_e32 v17, vcc, s34, v11
	v_fma_f64 v[5:6], v[15:16], v[7:8], v[5:6]
	v_fma_f64 v[7:8], v[7:8], 0, v[9:10]
	v_subbrev_co_u32_e32 v18, vcc, 0, v12, vcc
.LBB91_43:
	s_or_b64 exec, exec, s[4:5]
	s_and_saveexec_b64 s[4:5], s[18:19]
	s_cbranch_execz .LBB91_62
; %bb.44:
	v_mov_b32_e32 v9, 0
	ds_read_b64 v[13:14], v9 offset:6136
	s_waitcnt lgkmcnt(0)
	v_cmp_ne_u64_e32 vcc, v[17:18], v[13:14]
	s_and_saveexec_b64 s[18:19], vcc
	s_xor_b64 s[18:19], exec, s[18:19]
	s_cbranch_execz .LBB91_59
; %bb.45:
	v_cmp_gt_i64_e32 vcc, 0, v[13:14]
	s_cbranch_vccnz .LBB91_59
; %bb.46:
	v_mov_b32_e32 v9, 0
	ds_read_b128 v[9:12], v9 offset:4080
	v_mov_b32_e32 v21, 0
	s_mov_b64 s[24:25], exec
	v_bfrev_b32_e32 v22, 1
	s_waitcnt lgkmcnt(0)
	v_mul_f64 v[15:16], v[11:12], -v[3:4]
	v_fma_f64 v[15:16], v[1:2], v[9:10], v[15:16]
.LBB91_47:                              ; =>This Inner Loop Header: Depth=1
	s_ff1_i32_b64 s28, s[24:25]
	v_readlane_b32 s27, v16, s28
	v_readlane_b32 s26, v15, s28
	v_add_f64 v[21:22], v[21:22], s[26:27]
	s_lshl_b64 s[26:27], 1, s28
	s_andn2_b64 s[24:25], s[24:25], s[26:27]
	s_cmp_lg_u64 s[24:25], 0
	s_cbranch_scc1 .LBB91_47
; %bb.48:
	v_lshlrev_b64 v[13:14], 4, v[13:14]
	v_mov_b32_e32 v15, s23
	v_add_co_u32_e32 v19, vcc, s22, v13
	v_mbcnt_lo_u32_b32 v13, exec_lo, 0
	v_addc_co_u32_e32 v20, vcc, v15, v14, vcc
	v_mbcnt_hi_u32_b32 v13, exec_hi, v13
	v_cmp_eq_u32_e32 vcc, 0, v13
	s_and_saveexec_b64 s[24:25], vcc
	s_xor_b64 s[24:25], exec, s[24:25]
	s_cbranch_execz .LBB91_52
; %bb.49:
	global_load_dwordx2 v[15:16], v[19:20], off
	s_mov_b64 s[26:27], 0
.LBB91_50:                              ; =>This Inner Loop Header: Depth=1
	s_waitcnt vmcnt(0)
	v_add_f64 v[13:14], v[15:16], v[21:22]
	global_atomic_cmpswap_x2 v[13:14], v[19:20], v[13:16], off glc
	s_waitcnt vmcnt(0)
	v_cmp_eq_u64_e32 vcc, v[13:14], v[15:16]
	v_mov_b32_e32 v16, v14
	s_or_b64 s[26:27], vcc, s[26:27]
	v_mov_b32_e32 v15, v13
	s_andn2_b64 exec, exec, s[26:27]
	s_cbranch_execnz .LBB91_50
; %bb.51:
	s_or_b64 exec, exec, s[26:27]
.LBB91_52:
	s_or_b64 exec, exec, s[24:25]
	v_mul_f64 v[11:12], v[1:2], v[11:12]
	v_mov_b32_e32 v13, 0
	s_mov_b64 s[24:25], exec
	v_bfrev_b32_e32 v14, 1
	v_fma_f64 v[9:10], v[3:4], v[9:10], v[11:12]
.LBB91_53:                              ; =>This Inner Loop Header: Depth=1
	s_ff1_i32_b64 s28, s[24:25]
	v_readlane_b32 s27, v10, s28
	v_readlane_b32 s26, v9, s28
	v_add_f64 v[13:14], v[13:14], s[26:27]
	s_lshl_b64 s[26:27], 1, s28
	s_andn2_b64 s[24:25], s[24:25], s[26:27]
	s_cmp_lg_u64 s[24:25], 0
	s_cbranch_scc1 .LBB91_53
; %bb.54:
	v_mbcnt_lo_u32_b32 v9, exec_lo, 0
	v_mbcnt_hi_u32_b32 v9, exec_hi, v9
	v_cmp_eq_u32_e32 vcc, 0, v9
	s_and_saveexec_b64 s[24:25], vcc
	s_xor_b64 s[24:25], exec, s[24:25]
	s_cbranch_execz .LBB91_58
; %bb.55:
	global_load_dwordx2 v[11:12], v[19:20], off offset:8
	s_mov_b64 s[26:27], 0
.LBB91_56:                              ; =>This Inner Loop Header: Depth=1
	s_waitcnt vmcnt(0)
	v_add_f64 v[9:10], v[11:12], v[13:14]
	global_atomic_cmpswap_x2 v[9:10], v[19:20], v[9:12], off offset:8 glc
	s_waitcnt vmcnt(0)
	v_cmp_eq_u64_e32 vcc, v[9:10], v[11:12]
	v_mov_b32_e32 v12, v10
	s_or_b64 s[26:27], vcc, s[26:27]
	v_mov_b32_e32 v11, v9
	s_andn2_b64 exec, exec, s[26:27]
	s_cbranch_execnz .LBB91_56
; %bb.57:
	s_or_b64 exec, exec, s[26:27]
.LBB91_58:
	s_or_b64 exec, exec, s[24:25]
.LBB91_59:
	s_andn2_saveexec_b64 s[18:19], s[18:19]
	s_cbranch_execz .LBB91_61
; %bb.60:
	v_mov_b32_e32 v9, 0
	ds_read_b128 v[9:12], v9 offset:4080
	s_waitcnt lgkmcnt(0)
	v_add_f64 v[5:6], v[5:6], v[9:10]
	v_add_f64 v[7:8], v[7:8], v[11:12]
.LBB91_61:
	s_or_b64 exec, exec, s[18:19]
.LBB91_62:
	s_or_b64 exec, exec, s[4:5]
	s_barrier
	ds_write_b64 v23, v[17:18]
	ds_write_b128 v24, v[5:8]
	s_waitcnt lgkmcnt(0)
	s_barrier
	s_and_saveexec_b64 s[4:5], s[0:1]
	s_cbranch_execz .LBB91_66
; %bb.63:
	ds_read_b64 v[9:10], v25
	s_waitcnt lgkmcnt(0)
	v_cmp_eq_u64_e32 vcc, v[17:18], v[9:10]
	s_and_saveexec_b64 s[0:1], vcc
	s_cbranch_execz .LBB91_65
; %bb.64:
	v_add_u32_e32 v9, -16, v24
	ds_read_b128 v[9:12], v9
	s_waitcnt lgkmcnt(0)
	v_add_f64 v[5:6], v[5:6], v[9:10]
	v_add_f64 v[7:8], v[7:8], v[11:12]
.LBB91_65:
	s_or_b64 exec, exec, s[0:1]
.LBB91_66:
	s_or_b64 exec, exec, s[4:5]
	s_barrier
	ds_write_b128 v24, v[5:8]
	s_waitcnt lgkmcnt(0)
	s_barrier
	s_and_saveexec_b64 s[0:1], s[2:3]
	s_cbranch_execz .LBB91_70
; %bb.67:
	ds_read_b64 v[9:10], v26
	s_waitcnt lgkmcnt(0)
	v_cmp_eq_u64_e32 vcc, v[17:18], v[9:10]
	s_and_saveexec_b64 s[2:3], vcc
	s_cbranch_execz .LBB91_69
; %bb.68:
	v_subrev_u32_e32 v9, 32, v24
	ds_read_b128 v[9:12], v9
	s_waitcnt lgkmcnt(0)
	v_add_f64 v[5:6], v[5:6], v[9:10]
	v_add_f64 v[7:8], v[7:8], v[11:12]
.LBB91_69:
	s_or_b64 exec, exec, s[2:3]
.LBB91_70:
	s_or_b64 exec, exec, s[0:1]
	s_barrier
	ds_write_b128 v24, v[5:8]
	s_waitcnt lgkmcnt(0)
	s_barrier
	s_and_saveexec_b64 s[0:1], s[20:21]
	s_cbranch_execz .LBB91_74
; %bb.71:
	ds_read_b64 v[9:10], v27
	s_waitcnt lgkmcnt(0)
	v_cmp_eq_u64_e32 vcc, v[17:18], v[9:10]
	s_and_saveexec_b64 s[2:3], vcc
	s_cbranch_execz .LBB91_73
; %bb.72:
	v_subrev_u32_e32 v9, 64, v24
	ds_read_b128 v[9:12], v9
	s_waitcnt lgkmcnt(0)
	v_add_f64 v[5:6], v[5:6], v[9:10]
	v_add_f64 v[7:8], v[7:8], v[11:12]
.LBB91_73:
	s_or_b64 exec, exec, s[2:3]
.LBB91_74:
	s_or_b64 exec, exec, s[0:1]
	s_barrier
	ds_write_b128 v24, v[5:8]
	s_waitcnt lgkmcnt(0)
	s_barrier
	s_and_saveexec_b64 s[0:1], s[6:7]
	s_cbranch_execz .LBB91_78
; %bb.75:
	ds_read_b64 v[9:10], v28
	s_waitcnt lgkmcnt(0)
	v_cmp_eq_u64_e32 vcc, v[17:18], v[9:10]
	s_and_saveexec_b64 s[2:3], vcc
	s_cbranch_execz .LBB91_77
; %bb.76:
	v_add_u32_e32 v9, 0xffffff80, v24
	ds_read_b128 v[9:12], v9
	s_waitcnt lgkmcnt(0)
	v_add_f64 v[5:6], v[5:6], v[9:10]
	v_add_f64 v[7:8], v[7:8], v[11:12]
.LBB91_77:
	s_or_b64 exec, exec, s[2:3]
.LBB91_78:
	s_or_b64 exec, exec, s[0:1]
	s_barrier
	ds_write_b128 v24, v[5:8]
	s_waitcnt lgkmcnt(0)
	s_barrier
	s_and_saveexec_b64 s[0:1], s[8:9]
	s_cbranch_execz .LBB91_82
; %bb.79:
	v_add_u32_e32 v9, 0xffffff80, v23
	ds_read_b64 v[9:10], v9
	s_waitcnt lgkmcnt(0)
	v_cmp_eq_u64_e32 vcc, v[17:18], v[9:10]
	s_and_saveexec_b64 s[2:3], vcc
	s_cbranch_execz .LBB91_81
; %bb.80:
	v_add_u32_e32 v9, 0xffffff00, v24
	ds_read_b128 v[9:12], v9
	s_waitcnt lgkmcnt(0)
	v_add_f64 v[5:6], v[5:6], v[9:10]
	v_add_f64 v[7:8], v[7:8], v[11:12]
.LBB91_81:
	s_or_b64 exec, exec, s[2:3]
.LBB91_82:
	s_or_b64 exec, exec, s[0:1]
	s_barrier
	ds_write_b128 v24, v[5:8]
	s_waitcnt lgkmcnt(0)
	s_barrier
	s_and_saveexec_b64 s[0:1], s[10:11]
	s_cbranch_execz .LBB91_86
; %bb.83:
	v_add_u32_e32 v9, 0xffffff00, v23
	ds_read_b64 v[9:10], v9
	s_waitcnt lgkmcnt(0)
	v_cmp_eq_u64_e32 vcc, v[17:18], v[9:10]
	s_and_saveexec_b64 s[2:3], vcc
	s_cbranch_execz .LBB91_85
; %bb.84:
	v_add_u32_e32 v9, 0xfffffe00, v24
	ds_read_b128 v[9:12], v9
	s_waitcnt lgkmcnt(0)
	v_add_f64 v[5:6], v[5:6], v[9:10]
	v_add_f64 v[7:8], v[7:8], v[11:12]
.LBB91_85:
	s_or_b64 exec, exec, s[2:3]
.LBB91_86:
	;; [unrolled: 23-line block ×4, first 2 shown]
	s_or_b64 exec, exec, s[0:1]
	s_barrier
	ds_write_b128 v24, v[5:8]
	s_waitcnt lgkmcnt(0)
	s_barrier
	s_and_saveexec_b64 s[2:3], s[16:17]
	s_cbranch_execz .LBB91_100
; %bb.95:
	ds_read_b64 v[9:10], v23 offset:8
	v_cmp_lt_i64_e64 s[0:1], -1, v[17:18]
	s_waitcnt lgkmcnt(0)
	v_cmp_ne_u64_e32 vcc, v[17:18], v[9:10]
	s_and_b64 s[0:1], s[0:1], vcc
	s_and_b64 exec, exec, s[0:1]
	s_cbranch_execz .LBB91_100
; %bb.96:
	v_lshlrev_b64 v[9:10], 4, v[17:18]
	v_mov_b32_e32 v11, s23
	v_add_co_u32_e32 v13, vcc, s22, v9
	v_addc_co_u32_e32 v14, vcc, v11, v10, vcc
	global_load_dwordx2 v[11:12], v[13:14], off
	v_mul_f64 v[9:10], v[7:8], -v[3:4]
	s_mov_b64 s[0:1], 0
	v_fma_f64 v[15:16], v[1:2], v[5:6], v[9:10]
.LBB91_97:                              ; =>This Inner Loop Header: Depth=1
	s_waitcnt vmcnt(0)
	v_add_f64 v[9:10], v[11:12], v[15:16]
	global_atomic_cmpswap_x2 v[9:10], v[13:14], v[9:12], off glc
	s_waitcnt vmcnt(0)
	v_cmp_eq_u64_e32 vcc, v[9:10], v[11:12]
	v_mov_b32_e32 v12, v10
	s_or_b64 s[0:1], vcc, s[0:1]
	v_mov_b32_e32 v11, v9
	s_andn2_b64 exec, exec, s[0:1]
	s_cbranch_execnz .LBB91_97
; %bb.98:
	s_or_b64 exec, exec, s[0:1]
	global_load_dwordx2 v[11:12], v[13:14], off offset:8
	v_mul_f64 v[9:10], v[1:2], v[7:8]
	s_mov_b64 s[0:1], 0
	v_fma_f64 v[15:16], v[3:4], v[5:6], v[9:10]
.LBB91_99:                              ; =>This Inner Loop Header: Depth=1
	s_waitcnt vmcnt(0)
	v_add_f64 v[9:10], v[11:12], v[15:16]
	global_atomic_cmpswap_x2 v[9:10], v[13:14], v[9:12], off offset:8 glc
	s_waitcnt vmcnt(0)
	v_cmp_eq_u64_e32 vcc, v[9:10], v[11:12]
	v_mov_b32_e32 v12, v10
	s_or_b64 s[0:1], vcc, s[0:1]
	v_mov_b32_e32 v11, v9
	s_andn2_b64 exec, exec, s[0:1]
	s_cbranch_execnz .LBB91_99
.LBB91_100:
	s_or_b64 exec, exec, s[2:3]
	s_movk_i32 s0, 0xff
	v_cmp_lt_i64_e32 vcc, -1, v[17:18]
	v_cmp_eq_u32_e64 s[0:1], s0, v0
	s_and_b64 s[0:1], s[0:1], vcc
	s_and_b64 exec, exec, s[0:1]
	s_cbranch_execz .LBB91_105
; %bb.101:
	v_lshlrev_b64 v[9:10], 4, v[17:18]
	v_mov_b32_e32 v0, s23
	v_add_co_u32_e32 v13, vcc, s22, v9
	v_addc_co_u32_e32 v14, vcc, v0, v10, vcc
	global_load_dwordx2 v[11:12], v[13:14], off
	v_mul_f64 v[9:10], v[7:8], -v[3:4]
	s_mov_b64 s[0:1], 0
	v_fma_f64 v[15:16], v[1:2], v[5:6], v[9:10]
.LBB91_102:                             ; =>This Inner Loop Header: Depth=1
	s_waitcnt vmcnt(0)
	v_add_f64 v[9:10], v[11:12], v[15:16]
	global_atomic_cmpswap_x2 v[9:10], v[13:14], v[9:12], off glc
	s_waitcnt vmcnt(0)
	v_cmp_eq_u64_e32 vcc, v[9:10], v[11:12]
	v_mov_b32_e32 v12, v10
	s_or_b64 s[0:1], vcc, s[0:1]
	v_mov_b32_e32 v11, v9
	s_andn2_b64 exec, exec, s[0:1]
	s_cbranch_execnz .LBB91_102
; %bb.103:
	s_or_b64 exec, exec, s[0:1]
	global_load_dwordx2 v[9:10], v[13:14], off offset:8
	v_mul_f64 v[0:1], v[1:2], v[7:8]
	s_mov_b64 s[0:1], 0
	v_fma_f64 v[0:1], v[3:4], v[5:6], v[0:1]
.LBB91_104:                             ; =>This Inner Loop Header: Depth=1
	s_waitcnt vmcnt(0)
	v_add_f64 v[7:8], v[9:10], v[0:1]
	global_atomic_cmpswap_x2 v[2:3], v[13:14], v[7:10], off offset:8 glc
	s_waitcnt vmcnt(0)
	v_cmp_eq_u64_e32 vcc, v[2:3], v[9:10]
	v_mov_b32_e32 v10, v3
	s_or_b64 s[0:1], vcc, s[0:1]
	v_mov_b32_e32 v9, v2
	s_andn2_b64 exec, exec, s[0:1]
	s_cbranch_execnz .LBB91_104
.LBB91_105:
	s_endpgm
	.section	.rodata,"a",@progbits
	.p2align	6, 0x0
	.amdhsa_kernel _ZN9rocsparseL19coomvn_atomic_loopsILj256ELj2Eld21rocsparse_complex_numIdES2_S2_EEvlNS_24const_host_device_scalarIT5_EEPKT1_S8_PKT2_PKT3_PT4_21rocsparse_index_base_b
		.amdhsa_group_segment_fixed_size 6144
		.amdhsa_private_segment_fixed_size 0
		.amdhsa_kernarg_size 72
		.amdhsa_user_sgpr_count 6
		.amdhsa_user_sgpr_private_segment_buffer 1
		.amdhsa_user_sgpr_dispatch_ptr 0
		.amdhsa_user_sgpr_queue_ptr 0
		.amdhsa_user_sgpr_kernarg_segment_ptr 1
		.amdhsa_user_sgpr_dispatch_id 0
		.amdhsa_user_sgpr_flat_scratch_init 0
		.amdhsa_user_sgpr_private_segment_size 0
		.amdhsa_uses_dynamic_stack 0
		.amdhsa_system_sgpr_private_segment_wavefront_offset 0
		.amdhsa_system_sgpr_workgroup_id_x 1
		.amdhsa_system_sgpr_workgroup_id_y 0
		.amdhsa_system_sgpr_workgroup_id_z 0
		.amdhsa_system_sgpr_workgroup_info 0
		.amdhsa_system_vgpr_workitem_id 0
		.amdhsa_next_free_vgpr 29
		.amdhsa_next_free_sgpr 40
		.amdhsa_reserve_vcc 1
		.amdhsa_reserve_flat_scratch 0
		.amdhsa_float_round_mode_32 0
		.amdhsa_float_round_mode_16_64 0
		.amdhsa_float_denorm_mode_32 3
		.amdhsa_float_denorm_mode_16_64 3
		.amdhsa_dx10_clamp 1
		.amdhsa_ieee_mode 1
		.amdhsa_fp16_overflow 0
		.amdhsa_exception_fp_ieee_invalid_op 0
		.amdhsa_exception_fp_denorm_src 0
		.amdhsa_exception_fp_ieee_div_zero 0
		.amdhsa_exception_fp_ieee_overflow 0
		.amdhsa_exception_fp_ieee_underflow 0
		.amdhsa_exception_fp_ieee_inexact 0
		.amdhsa_exception_int_div_zero 0
	.end_amdhsa_kernel
	.section	.text._ZN9rocsparseL19coomvn_atomic_loopsILj256ELj2Eld21rocsparse_complex_numIdES2_S2_EEvlNS_24const_host_device_scalarIT5_EEPKT1_S8_PKT2_PKT3_PT4_21rocsparse_index_base_b,"axG",@progbits,_ZN9rocsparseL19coomvn_atomic_loopsILj256ELj2Eld21rocsparse_complex_numIdES2_S2_EEvlNS_24const_host_device_scalarIT5_EEPKT1_S8_PKT2_PKT3_PT4_21rocsparse_index_base_b,comdat
.Lfunc_end91:
	.size	_ZN9rocsparseL19coomvn_atomic_loopsILj256ELj2Eld21rocsparse_complex_numIdES2_S2_EEvlNS_24const_host_device_scalarIT5_EEPKT1_S8_PKT2_PKT3_PT4_21rocsparse_index_base_b, .Lfunc_end91-_ZN9rocsparseL19coomvn_atomic_loopsILj256ELj2Eld21rocsparse_complex_numIdES2_S2_EEvlNS_24const_host_device_scalarIT5_EEPKT1_S8_PKT2_PKT3_PT4_21rocsparse_index_base_b
                                        ; -- End function
	.set _ZN9rocsparseL19coomvn_atomic_loopsILj256ELj2Eld21rocsparse_complex_numIdES2_S2_EEvlNS_24const_host_device_scalarIT5_EEPKT1_S8_PKT2_PKT3_PT4_21rocsparse_index_base_b.num_vgpr, 29
	.set _ZN9rocsparseL19coomvn_atomic_loopsILj256ELj2Eld21rocsparse_complex_numIdES2_S2_EEvlNS_24const_host_device_scalarIT5_EEPKT1_S8_PKT2_PKT3_PT4_21rocsparse_index_base_b.num_agpr, 0
	.set _ZN9rocsparseL19coomvn_atomic_loopsILj256ELj2Eld21rocsparse_complex_numIdES2_S2_EEvlNS_24const_host_device_scalarIT5_EEPKT1_S8_PKT2_PKT3_PT4_21rocsparse_index_base_b.numbered_sgpr, 40
	.set _ZN9rocsparseL19coomvn_atomic_loopsILj256ELj2Eld21rocsparse_complex_numIdES2_S2_EEvlNS_24const_host_device_scalarIT5_EEPKT1_S8_PKT2_PKT3_PT4_21rocsparse_index_base_b.num_named_barrier, 0
	.set _ZN9rocsparseL19coomvn_atomic_loopsILj256ELj2Eld21rocsparse_complex_numIdES2_S2_EEvlNS_24const_host_device_scalarIT5_EEPKT1_S8_PKT2_PKT3_PT4_21rocsparse_index_base_b.private_seg_size, 0
	.set _ZN9rocsparseL19coomvn_atomic_loopsILj256ELj2Eld21rocsparse_complex_numIdES2_S2_EEvlNS_24const_host_device_scalarIT5_EEPKT1_S8_PKT2_PKT3_PT4_21rocsparse_index_base_b.uses_vcc, 1
	.set _ZN9rocsparseL19coomvn_atomic_loopsILj256ELj2Eld21rocsparse_complex_numIdES2_S2_EEvlNS_24const_host_device_scalarIT5_EEPKT1_S8_PKT2_PKT3_PT4_21rocsparse_index_base_b.uses_flat_scratch, 0
	.set _ZN9rocsparseL19coomvn_atomic_loopsILj256ELj2Eld21rocsparse_complex_numIdES2_S2_EEvlNS_24const_host_device_scalarIT5_EEPKT1_S8_PKT2_PKT3_PT4_21rocsparse_index_base_b.has_dyn_sized_stack, 0
	.set _ZN9rocsparseL19coomvn_atomic_loopsILj256ELj2Eld21rocsparse_complex_numIdES2_S2_EEvlNS_24const_host_device_scalarIT5_EEPKT1_S8_PKT2_PKT3_PT4_21rocsparse_index_base_b.has_recursion, 0
	.set _ZN9rocsparseL19coomvn_atomic_loopsILj256ELj2Eld21rocsparse_complex_numIdES2_S2_EEvlNS_24const_host_device_scalarIT5_EEPKT1_S8_PKT2_PKT3_PT4_21rocsparse_index_base_b.has_indirect_call, 0
	.section	.AMDGPU.csdata,"",@progbits
; Kernel info:
; codeLenInByte = 3420
; TotalNumSgprs: 44
; NumVgprs: 29
; ScratchSize: 0
; MemoryBound: 1
; FloatMode: 240
; IeeeMode: 1
; LDSByteSize: 6144 bytes/workgroup (compile time only)
; SGPRBlocks: 5
; VGPRBlocks: 7
; NumSGPRsForWavesPerEU: 44
; NumVGPRsForWavesPerEU: 29
; Occupancy: 8
; WaveLimiterHint : 1
; COMPUTE_PGM_RSRC2:SCRATCH_EN: 0
; COMPUTE_PGM_RSRC2:USER_SGPR: 6
; COMPUTE_PGM_RSRC2:TRAP_HANDLER: 0
; COMPUTE_PGM_RSRC2:TGID_X_EN: 1
; COMPUTE_PGM_RSRC2:TGID_Y_EN: 0
; COMPUTE_PGM_RSRC2:TGID_Z_EN: 0
; COMPUTE_PGM_RSRC2:TIDIG_COMP_CNT: 0
	.section	.text._ZN9rocsparseL22coomvn_segmented_loopsILj256EifdddEEvlT0_NS_24const_host_device_scalarIT4_EEPKS1_S6_PKT1_PKT2_PT3_PS1_PS3_21rocsparse_index_base_b,"axG",@progbits,_ZN9rocsparseL22coomvn_segmented_loopsILj256EifdddEEvlT0_NS_24const_host_device_scalarIT4_EEPKS1_S6_PKT1_PKT2_PT3_PS1_PS3_21rocsparse_index_base_b,comdat
	.globl	_ZN9rocsparseL22coomvn_segmented_loopsILj256EifdddEEvlT0_NS_24const_host_device_scalarIT4_EEPKS1_S6_PKT1_PKT2_PT3_PS1_PS3_21rocsparse_index_base_b ; -- Begin function _ZN9rocsparseL22coomvn_segmented_loopsILj256EifdddEEvlT0_NS_24const_host_device_scalarIT4_EEPKS1_S6_PKT1_PKT2_PT3_PS1_PS3_21rocsparse_index_base_b
	.p2align	8
	.type	_ZN9rocsparseL22coomvn_segmented_loopsILj256EifdddEEvlT0_NS_24const_host_device_scalarIT4_EEPKS1_S6_PKT1_PKT2_PT3_PS1_PS3_21rocsparse_index_base_b,@function
_ZN9rocsparseL22coomvn_segmented_loopsILj256EifdddEEvlT0_NS_24const_host_device_scalarIT4_EEPKS1_S6_PKT1_PKT2_PT3_PS1_PS3_21rocsparse_index_base_b: ; @_ZN9rocsparseL22coomvn_segmented_loopsILj256EifdddEEvlT0_NS_24const_host_device_scalarIT4_EEPKS1_S6_PKT1_PKT2_PT3_PS1_PS3_21rocsparse_index_base_b
; %bb.0:
	s_load_dwordx2 s[28:29], s[4:5], 0x50
	s_load_dwordx2 s[0:1], s[4:5], 0x10
	s_waitcnt lgkmcnt(0)
	s_bitcmp1_b32 s29, 0
	s_cselect_b64 s[2:3], -1, 0
	v_mov_b32_e32 v2, s1
	s_and_b64 vcc, exec, s[2:3]
	v_mov_b32_e32 v1, s0
	s_cbranch_vccnz .LBB92_2
; %bb.1:
	v_mov_b32_e32 v2, s1
	v_mov_b32_e32 v1, s0
	flat_load_dwordx2 v[1:2], v[1:2]
.LBB92_2:
	s_waitcnt vmcnt(0) lgkmcnt(0)
	v_cmp_neq_f64_e32 vcc, 0, v[1:2]
	s_and_saveexec_b64 s[0:1], vcc
	s_cbranch_execz .LBB92_89
; %bb.3:
	s_load_dword s33, s[4:5], 0x8
	s_load_dwordx2 s[30:31], s[4:5], 0x0
	s_load_dwordx8 s[36:43], s[4:5], 0x18
	v_mov_b32_e32 v14, 0
	v_mov_b32_e32 v5, 0
	s_waitcnt lgkmcnt(0)
	s_mul_i32 s0, s6, s33
	v_lshl_or_b32 v13, s0, 8, v0
	v_cmp_gt_i64_e32 vcc, s[30:31], v[13:14]
	v_lshlrev_b64 v[7:8], 2, v[13:14]
	v_mov_b32_e32 v6, 0
	v_mov_b32_e32 v3, -1
	s_and_saveexec_b64 s[0:1], vcc
	s_cbranch_execz .LBB92_5
; %bb.4:
	v_mov_b32_e32 v4, s39
	v_add_co_u32_e32 v3, vcc, s38, v7
	v_addc_co_u32_e32 v4, vcc, v4, v8, vcc
	global_load_dword v3, v[3:4], off glc slc
	v_mov_b32_e32 v5, s41
	v_add_co_u32_e32 v4, vcc, s40, v7
	v_addc_co_u32_e32 v5, vcc, v5, v8, vcc
	global_load_dword v9, v[4:5], off glc slc
	v_mov_b32_e32 v6, s43
	s_ashr_i32 s29, s28, 31
	s_lshl_b64 s[2:3], s[28:29], 3
	v_mov_b32_e32 v5, s3
	s_waitcnt vmcnt(1)
	v_ashrrev_i32_e32 v4, 31, v3
	v_lshlrev_b64 v[3:4], 3, v[3:4]
	v_add_co_u32_e32 v3, vcc, s42, v3
	v_addc_co_u32_e32 v4, vcc, v6, v4, vcc
	v_subrev_co_u32_e32 v3, vcc, s2, v3
	v_subb_co_u32_e32 v4, vcc, v4, v5, vcc
	global_load_dwordx2 v[3:4], v[3:4], off
	v_mov_b32_e32 v6, s37
	v_add_co_u32_e32 v5, vcc, s36, v7
	v_addc_co_u32_e32 v6, vcc, v6, v8, vcc
	global_load_dword v10, v[5:6], off glc slc
	s_waitcnt vmcnt(2)
	v_cvt_f64_f32_e32 v[5:6], v9
	s_waitcnt vmcnt(1)
	v_mul_f64 v[5:6], v[3:4], v[5:6]
	s_waitcnt vmcnt(0)
	v_subrev_u32_e32 v3, s28, v10
.LBB92_5:
	s_or_b64 exec, exec, s[0:1]
	v_lshlrev_b32_e32 v4, 2, v0
	v_or_b32_e32 v15, 0x800, v4
	v_lshlrev_b32_e32 v16, 3, v0
	v_cmp_eq_u32_e64 s[0:1], 0, v0
	v_cmp_ne_u32_e64 s[2:3], 0, v0
	v_add_u32_e32 v17, -4, v15
	ds_write_b32 v4, v3 offset:2048
	ds_write_b64 v16, v[5:6]
	s_waitcnt lgkmcnt(0)
	s_barrier
	s_and_saveexec_b64 s[8:9], s[2:3]
	s_cbranch_execz .LBB92_9
; %bb.6:
	ds_read_b32 v4, v17
	s_waitcnt lgkmcnt(0)
	v_cmp_eq_u32_e32 vcc, v3, v4
	s_and_saveexec_b64 s[10:11], vcc
	s_cbranch_execz .LBB92_8
; %bb.7:
	v_add_u32_e32 v4, -8, v16
	ds_read_b64 v[9:10], v4
	s_waitcnt lgkmcnt(0)
	v_add_f64 v[5:6], v[5:6], v[9:10]
.LBB92_8:
	s_or_b64 exec, exec, s[10:11]
.LBB92_9:
	s_or_b64 exec, exec, s[8:9]
	v_cmp_lt_u32_e64 s[22:23], 1, v0
	v_add_u32_e32 v18, -8, v15
	s_barrier
	ds_write_b64 v16, v[5:6]
	s_waitcnt lgkmcnt(0)
	s_barrier
	s_and_saveexec_b64 s[8:9], s[22:23]
	s_cbranch_execz .LBB92_13
; %bb.10:
	ds_read_b32 v4, v18
	s_waitcnt lgkmcnt(0)
	v_cmp_eq_u32_e32 vcc, v3, v4
	s_and_saveexec_b64 s[10:11], vcc
	s_cbranch_execz .LBB92_12
; %bb.11:
	v_add_u32_e32 v4, -16, v16
	ds_read_b64 v[9:10], v4
	s_waitcnt lgkmcnt(0)
	v_add_f64 v[5:6], v[5:6], v[9:10]
.LBB92_12:
	s_or_b64 exec, exec, s[10:11]
.LBB92_13:
	s_or_b64 exec, exec, s[8:9]
	v_cmp_lt_u32_e64 s[8:9], 3, v0
	v_add_u32_e32 v19, -16, v15
	s_barrier
	ds_write_b64 v16, v[5:6]
	s_waitcnt lgkmcnt(0)
	s_barrier
	s_and_saveexec_b64 s[10:11], s[8:9]
	s_cbranch_execz .LBB92_17
; %bb.14:
	ds_read_b32 v4, v19
	s_waitcnt lgkmcnt(0)
	v_cmp_eq_u32_e32 vcc, v3, v4
	s_and_saveexec_b64 s[12:13], vcc
	s_cbranch_execz .LBB92_16
; %bb.15:
	v_subrev_u32_e32 v4, 32, v16
	ds_read_b64 v[9:10], v4
	s_waitcnt lgkmcnt(0)
	v_add_f64 v[5:6], v[5:6], v[9:10]
.LBB92_16:
	s_or_b64 exec, exec, s[12:13]
.LBB92_17:
	s_or_b64 exec, exec, s[10:11]
	v_cmp_lt_u32_e64 s[10:11], 7, v0
	v_subrev_u32_e32 v20, 32, v15
	s_barrier
	ds_write_b64 v16, v[5:6]
	s_waitcnt lgkmcnt(0)
	s_barrier
	s_and_saveexec_b64 s[12:13], s[10:11]
	s_cbranch_execz .LBB92_21
; %bb.18:
	ds_read_b32 v4, v20
	s_waitcnt lgkmcnt(0)
	v_cmp_eq_u32_e32 vcc, v3, v4
	s_and_saveexec_b64 s[14:15], vcc
	s_cbranch_execz .LBB92_20
; %bb.19:
	v_subrev_u32_e32 v4, 64, v16
	ds_read_b64 v[9:10], v4
	s_waitcnt lgkmcnt(0)
	v_add_f64 v[5:6], v[5:6], v[9:10]
.LBB92_20:
	s_or_b64 exec, exec, s[14:15]
.LBB92_21:
	s_or_b64 exec, exec, s[12:13]
	v_cmp_lt_u32_e64 s[12:13], 15, v0
	v_subrev_u32_e32 v21, 64, v15
	s_barrier
	ds_write_b64 v16, v[5:6]
	s_waitcnt lgkmcnt(0)
	s_barrier
	s_and_saveexec_b64 s[14:15], s[12:13]
	s_cbranch_execz .LBB92_25
; %bb.22:
	ds_read_b32 v4, v21
	s_waitcnt lgkmcnt(0)
	v_cmp_eq_u32_e32 vcc, v3, v4
	s_and_saveexec_b64 s[16:17], vcc
	s_cbranch_execz .LBB92_24
; %bb.23:
	v_add_u32_e32 v4, 0xffffff80, v16
	ds_read_b64 v[9:10], v4
	s_waitcnt lgkmcnt(0)
	v_add_f64 v[5:6], v[5:6], v[9:10]
.LBB92_24:
	s_or_b64 exec, exec, s[16:17]
.LBB92_25:
	s_or_b64 exec, exec, s[14:15]
	v_cmp_lt_u32_e64 s[14:15], 31, v0
	s_barrier
	ds_write_b64 v16, v[5:6]
	s_waitcnt lgkmcnt(0)
	s_barrier
	s_and_saveexec_b64 s[16:17], s[14:15]
	s_cbranch_execz .LBB92_29
; %bb.26:
	v_add_u32_e32 v4, 0xffffff80, v15
	ds_read_b32 v4, v4
	s_waitcnt lgkmcnt(0)
	v_cmp_eq_u32_e32 vcc, v3, v4
	s_and_saveexec_b64 s[18:19], vcc
	s_cbranch_execz .LBB92_28
; %bb.27:
	v_add_u32_e32 v4, 0xffffff00, v16
	ds_read_b64 v[9:10], v4
	s_waitcnt lgkmcnt(0)
	v_add_f64 v[5:6], v[5:6], v[9:10]
.LBB92_28:
	s_or_b64 exec, exec, s[18:19]
.LBB92_29:
	s_or_b64 exec, exec, s[16:17]
	v_cmp_lt_u32_e64 s[16:17], 63, v0
	s_barrier
	ds_write_b64 v16, v[5:6]
	s_waitcnt lgkmcnt(0)
	s_barrier
	s_and_saveexec_b64 s[18:19], s[16:17]
	s_cbranch_execz .LBB92_33
; %bb.30:
	v_add_u32_e32 v4, 0xffffff00, v15
	ds_read_b32 v4, v4
	s_waitcnt lgkmcnt(0)
	v_cmp_eq_u32_e32 vcc, v3, v4
	s_and_saveexec_b64 s[20:21], vcc
	s_cbranch_execz .LBB92_32
; %bb.31:
	v_add_u32_e32 v4, 0xfffffe00, v16
	ds_read_b64 v[9:10], v4
	s_waitcnt lgkmcnt(0)
	v_add_f64 v[5:6], v[5:6], v[9:10]
.LBB92_32:
	s_or_b64 exec, exec, s[20:21]
.LBB92_33:
	s_or_b64 exec, exec, s[18:19]
	s_load_dwordx2 s[34:35], s[4:5], 0x38
	s_movk_i32 s7, 0x7f
	v_cmp_lt_u32_e64 s[18:19], s7, v0
	s_waitcnt lgkmcnt(0)
	s_barrier
	ds_write_b64 v16, v[5:6]
	s_waitcnt lgkmcnt(0)
	s_barrier
	s_and_saveexec_b64 s[20:21], s[18:19]
	s_cbranch_execz .LBB92_37
; %bb.34:
	v_add_u32_e32 v4, 0xfffffe00, v15
	ds_read_b32 v4, v4
	s_waitcnt lgkmcnt(0)
	v_cmp_eq_u32_e32 vcc, v3, v4
	s_and_saveexec_b64 s[24:25], vcc
	s_cbranch_execz .LBB92_36
; %bb.35:
	v_add_u32_e32 v4, 0xfffffc00, v16
	ds_read_b64 v[9:10], v4
	s_waitcnt lgkmcnt(0)
	v_add_f64 v[5:6], v[5:6], v[9:10]
.LBB92_36:
	s_or_b64 exec, exec, s[24:25]
.LBB92_37:
	s_or_b64 exec, exec, s[20:21]
	s_movk_i32 s7, 0xff
	v_cmp_gt_u32_e64 s[20:21], s7, v0
	s_barrier
	ds_write_b64 v16, v[5:6]
	s_waitcnt lgkmcnt(0)
	s_barrier
	s_and_saveexec_b64 s[26:27], s[20:21]
	s_cbranch_execz .LBB92_40
; %bb.38:
	ds_read_b32 v4, v15 offset:4
	v_cmp_lt_i32_e64 s[24:25], -1, v3
	s_waitcnt lgkmcnt(0)
	v_cmp_ne_u32_e32 vcc, v3, v4
	s_and_b64 s[24:25], s[24:25], vcc
	s_and_b64 exec, exec, s[24:25]
	s_cbranch_execz .LBB92_40
; %bb.39:
	v_mov_b32_e32 v4, 0
	v_lshlrev_b64 v[9:10], 3, v[3:4]
	v_mov_b32_e32 v4, s35
	v_add_co_u32_e32 v9, vcc, s34, v9
	v_addc_co_u32_e32 v10, vcc, v4, v10, vcc
	global_load_dwordx2 v[11:12], v[9:10], off
	s_waitcnt vmcnt(0)
	v_fma_f64 v[11:12], v[1:2], v[5:6], v[11:12]
	global_store_dwordx2 v[9:10], v[11:12], off
.LBB92_40:
	s_or_b64 exec, exec, s[26:27]
	s_load_dwordx4 s[24:27], s[4:5], 0x40
	s_cmp_lt_i32 s33, 2
	s_cbranch_scc1 .LBB92_87
; %bb.41:
	s_ashr_i32 s29, s28, 31
	s_lshl_b64 s[4:5], s[28:29], 3
	s_sub_u32 s7, s42, s4
	s_movk_i32 s4, 0x400
	v_add_co_u32_e32 v3, vcc, s4, v7
	v_addc_co_u32_e32 v4, vcc, 0, v8, vcc
	v_mov_b32_e32 v5, s39
	v_add_co_u32_e32 v7, vcc, s38, v3
	v_addc_co_u32_e32 v8, vcc, v5, v4, vcc
	v_mov_b32_e32 v5, s41
	;; [unrolled: 3-line block ×3, first 2 shown]
	v_add_co_u32_e32 v11, vcc, s36, v3
	v_addc_co_u32_e32 v12, vcc, v5, v4, vcc
	s_movk_i32 s4, 0x100
	v_add_co_u32_e32 v13, vcc, s4, v13
	s_subb_u32 s29, s43, s5
	v_subrev_u32_e32 v22, 64, v16
	v_add_u32_e32 v23, 0xffffff80, v16
	v_add_u32_e32 v24, 0xffffff80, v15
	;; [unrolled: 1-line block ×6, first 2 shown]
	v_addc_co_u32_e64 v14, s[4:5], 0, 0, vcc
	s_add_i32 s33, s33, -1
	s_mov_b32 s37, 0
	v_add_u32_e32 v29, 0xfffffc00, v16
	v_mov_b32_e32 v4, 0
	s_branch .LBB92_43
.LBB92_42:                              ;   in Loop: Header=BB92_43 Depth=1
	s_or_b64 exec, exec, s[38:39]
	v_add_co_u32_e32 v7, vcc, 0x400, v7
	v_addc_co_u32_e32 v8, vcc, 0, v8, vcc
	v_add_co_u32_e32 v9, vcc, 0x400, v9
	v_addc_co_u32_e32 v10, vcc, 0, v10, vcc
	;; [unrolled: 2-line block ×3, first 2 shown]
	v_add_co_u32_e32 v13, vcc, 0x100, v13
	s_add_i32 s33, s33, -1
	s_cmp_eq_u32 s33, 0
	v_addc_co_u32_e32 v14, vcc, 0, v14, vcc
	s_cbranch_scc1 .LBB92_87
.LBB92_43:                              ; =>This Inner Loop Header: Depth=1
	v_cmp_gt_i64_e32 vcc, s[30:31], v[13:14]
	v_mov_b32_e32 v5, 0
	v_mov_b32_e32 v6, 0
	v_mov_b32_e32 v3, -1
	s_and_saveexec_b64 s[4:5], vcc
	s_cbranch_execz .LBB92_45
; %bb.44:                               ;   in Loop: Header=BB92_43 Depth=1
	global_load_dword v5, v[7:8], off glc slc
	global_load_dword v3, v[9:10], off glc slc
	v_mov_b32_e32 v30, s29
	s_waitcnt vmcnt(1)
	v_ashrrev_i32_e32 v6, 31, v5
	v_lshlrev_b64 v[5:6], 3, v[5:6]
	v_add_co_u32_e32 v5, vcc, s7, v5
	v_addc_co_u32_e32 v6, vcc, v30, v6, vcc
	global_load_dwordx2 v[30:31], v[5:6], off
	global_load_dword v32, v[11:12], off glc slc
	s_waitcnt vmcnt(2)
	v_cvt_f64_f32_e32 v[5:6], v3
	s_waitcnt vmcnt(1)
	v_mul_f64 v[5:6], v[30:31], v[5:6]
	s_waitcnt vmcnt(0)
	v_subrev_u32_e32 v3, s28, v32
.LBB92_45:                              ;   in Loop: Header=BB92_43 Depth=1
	s_or_b64 exec, exec, s[4:5]
	s_and_saveexec_b64 s[4:5], s[0:1]
	s_cbranch_execz .LBB92_52
; %bb.46:                               ;   in Loop: Header=BB92_43 Depth=1
	ds_read_b32 v30, v4 offset:3068
	s_waitcnt lgkmcnt(0)
	v_readfirstlane_b32 s36, v30
	v_cmp_ne_u32_e32 vcc, v3, v30
	s_and_saveexec_b64 s[38:39], vcc
	s_xor_b64 s[38:39], exec, s[38:39]
	s_cbranch_execz .LBB92_49
; %bb.47:                               ;   in Loop: Header=BB92_43 Depth=1
	s_cmp_lt_i32 s36, 0
	s_cbranch_scc1 .LBB92_49
; %bb.48:                               ;   in Loop: Header=BB92_43 Depth=1
	s_lshl_b64 s[40:41], s[36:37], 3
	s_add_u32 s40, s34, s40
	s_addc_u32 s41, s35, s41
	global_load_dwordx2 v[30:31], v4, s[40:41]
	ds_read_b64 v[32:33], v4 offset:2040
	s_waitcnt vmcnt(0) lgkmcnt(0)
	v_fma_f64 v[30:31], v[1:2], v[32:33], v[30:31]
	global_store_dwordx2 v4, v[30:31], s[40:41]
.LBB92_49:                              ;   in Loop: Header=BB92_43 Depth=1
	s_andn2_saveexec_b64 s[38:39], s[38:39]
	s_cbranch_execz .LBB92_51
; %bb.50:                               ;   in Loop: Header=BB92_43 Depth=1
	ds_read_b64 v[30:31], v4 offset:2040
	s_waitcnt lgkmcnt(0)
	v_add_f64 v[5:6], v[5:6], v[30:31]
.LBB92_51:                              ;   in Loop: Header=BB92_43 Depth=1
	s_or_b64 exec, exec, s[38:39]
.LBB92_52:                              ;   in Loop: Header=BB92_43 Depth=1
	s_or_b64 exec, exec, s[4:5]
	s_waitcnt vmcnt(0) lgkmcnt(0)
	s_barrier
	ds_write_b32 v15, v3
	ds_write_b64 v16, v[5:6]
	s_waitcnt lgkmcnt(0)
	s_barrier
	s_and_saveexec_b64 s[4:5], s[2:3]
	s_cbranch_execz .LBB92_56
; %bb.53:                               ;   in Loop: Header=BB92_43 Depth=1
	ds_read_b32 v30, v17
	s_waitcnt lgkmcnt(0)
	v_cmp_eq_u32_e32 vcc, v3, v30
	s_and_saveexec_b64 s[38:39], vcc
	s_cbranch_execz .LBB92_55
; %bb.54:                               ;   in Loop: Header=BB92_43 Depth=1
	v_add_u32_e32 v30, -8, v16
	ds_read_b64 v[30:31], v30
	s_waitcnt lgkmcnt(0)
	v_add_f64 v[5:6], v[5:6], v[30:31]
.LBB92_55:                              ;   in Loop: Header=BB92_43 Depth=1
	s_or_b64 exec, exec, s[38:39]
.LBB92_56:                              ;   in Loop: Header=BB92_43 Depth=1
	s_or_b64 exec, exec, s[4:5]
	s_barrier
	ds_write_b64 v16, v[5:6]
	s_waitcnt lgkmcnt(0)
	s_barrier
	s_and_saveexec_b64 s[4:5], s[22:23]
	s_cbranch_execz .LBB92_60
; %bb.57:                               ;   in Loop: Header=BB92_43 Depth=1
	ds_read_b32 v30, v18
	s_waitcnt lgkmcnt(0)
	v_cmp_eq_u32_e32 vcc, v3, v30
	s_and_saveexec_b64 s[38:39], vcc
	s_cbranch_execz .LBB92_59
; %bb.58:                               ;   in Loop: Header=BB92_43 Depth=1
	v_add_u32_e32 v30, -16, v16
	ds_read_b64 v[30:31], v30
	s_waitcnt lgkmcnt(0)
	v_add_f64 v[5:6], v[5:6], v[30:31]
.LBB92_59:                              ;   in Loop: Header=BB92_43 Depth=1
	s_or_b64 exec, exec, s[38:39]
.LBB92_60:                              ;   in Loop: Header=BB92_43 Depth=1
	s_or_b64 exec, exec, s[4:5]
	s_barrier
	ds_write_b64 v16, v[5:6]
	s_waitcnt lgkmcnt(0)
	s_barrier
	s_and_saveexec_b64 s[4:5], s[8:9]
	s_cbranch_execz .LBB92_64
; %bb.61:                               ;   in Loop: Header=BB92_43 Depth=1
	ds_read_b32 v30, v19
	s_waitcnt lgkmcnt(0)
	v_cmp_eq_u32_e32 vcc, v3, v30
	s_and_saveexec_b64 s[38:39], vcc
	s_cbranch_execz .LBB92_63
; %bb.62:                               ;   in Loop: Header=BB92_43 Depth=1
	v_subrev_u32_e32 v30, 32, v16
	ds_read_b64 v[30:31], v30
	s_waitcnt lgkmcnt(0)
	v_add_f64 v[5:6], v[5:6], v[30:31]
.LBB92_63:                              ;   in Loop: Header=BB92_43 Depth=1
	s_or_b64 exec, exec, s[38:39]
.LBB92_64:                              ;   in Loop: Header=BB92_43 Depth=1
	s_or_b64 exec, exec, s[4:5]
	s_barrier
	ds_write_b64 v16, v[5:6]
	s_waitcnt lgkmcnt(0)
	s_barrier
	s_and_saveexec_b64 s[4:5], s[10:11]
	s_cbranch_execz .LBB92_68
; %bb.65:                               ;   in Loop: Header=BB92_43 Depth=1
	ds_read_b32 v30, v20
	s_waitcnt lgkmcnt(0)
	v_cmp_eq_u32_e32 vcc, v3, v30
	s_and_saveexec_b64 s[38:39], vcc
	s_cbranch_execz .LBB92_67
; %bb.66:                               ;   in Loop: Header=BB92_43 Depth=1
	ds_read_b64 v[30:31], v22
	s_waitcnt lgkmcnt(0)
	v_add_f64 v[5:6], v[5:6], v[30:31]
.LBB92_67:                              ;   in Loop: Header=BB92_43 Depth=1
	s_or_b64 exec, exec, s[38:39]
.LBB92_68:                              ;   in Loop: Header=BB92_43 Depth=1
	s_or_b64 exec, exec, s[4:5]
	s_barrier
	ds_write_b64 v16, v[5:6]
	s_waitcnt lgkmcnt(0)
	s_barrier
	s_and_saveexec_b64 s[4:5], s[12:13]
	s_cbranch_execz .LBB92_72
; %bb.69:                               ;   in Loop: Header=BB92_43 Depth=1
	ds_read_b32 v30, v21
	s_waitcnt lgkmcnt(0)
	v_cmp_eq_u32_e32 vcc, v3, v30
	s_and_saveexec_b64 s[38:39], vcc
	s_cbranch_execz .LBB92_71
; %bb.70:                               ;   in Loop: Header=BB92_43 Depth=1
	ds_read_b64 v[30:31], v23
	s_waitcnt lgkmcnt(0)
	v_add_f64 v[5:6], v[5:6], v[30:31]
.LBB92_71:                              ;   in Loop: Header=BB92_43 Depth=1
	s_or_b64 exec, exec, s[38:39]
.LBB92_72:                              ;   in Loop: Header=BB92_43 Depth=1
	;; [unrolled: 20-line block ×5, first 2 shown]
	s_or_b64 exec, exec, s[4:5]
	s_barrier
	ds_write_b64 v16, v[5:6]
	s_waitcnt lgkmcnt(0)
	s_barrier
	s_and_saveexec_b64 s[38:39], s[20:21]
	s_cbranch_execz .LBB92_42
; %bb.85:                               ;   in Loop: Header=BB92_43 Depth=1
	ds_read_b32 v30, v15 offset:4
	v_cmp_lt_i32_e64 s[4:5], -1, v3
	s_waitcnt lgkmcnt(0)
	v_cmp_ne_u32_e32 vcc, v3, v30
	s_and_b64 s[4:5], s[4:5], vcc
	s_and_b64 exec, exec, s[4:5]
	s_cbranch_execz .LBB92_42
; %bb.86:                               ;   in Loop: Header=BB92_43 Depth=1
	v_lshlrev_b64 v[30:31], 3, v[3:4]
	v_mov_b32_e32 v32, s35
	v_add_co_u32_e32 v30, vcc, s34, v30
	v_addc_co_u32_e32 v31, vcc, v32, v31, vcc
	global_load_dwordx2 v[32:33], v[30:31], off
	s_waitcnt vmcnt(0)
	v_fma_f64 v[32:33], v[1:2], v[5:6], v[32:33]
	global_store_dwordx2 v[30:31], v[32:33], off
	s_branch .LBB92_42
.LBB92_87:
	s_movk_i32 s0, 0xff
	v_cmp_eq_u32_e32 vcc, s0, v0
	s_and_b64 exec, exec, vcc
	s_cbranch_execz .LBB92_89
; %bb.88:
	v_mul_f64 v[0:1], v[1:2], v[5:6]
	s_mov_b32 s7, 0
	s_lshl_b64 s[0:1], s[6:7], 2
	s_waitcnt lgkmcnt(0)
	s_add_u32 s0, s24, s0
	s_addc_u32 s1, s25, s1
	s_lshl_b64 s[2:3], s[6:7], 3
	v_mov_b32_e32 v2, 0
	s_add_u32 s2, s26, s2
	s_addc_u32 s3, s27, s3
	global_store_dword v2, v3, s[0:1] glc slc
	global_store_dwordx2 v2, v[0:1], s[2:3] glc slc
.LBB92_89:
	s_endpgm
	.section	.rodata,"a",@progbits
	.p2align	6, 0x0
	.amdhsa_kernel _ZN9rocsparseL22coomvn_segmented_loopsILj256EifdddEEvlT0_NS_24const_host_device_scalarIT4_EEPKS1_S6_PKT1_PKT2_PT3_PS1_PS3_21rocsparse_index_base_b
		.amdhsa_group_segment_fixed_size 3072
		.amdhsa_private_segment_fixed_size 0
		.amdhsa_kernarg_size 88
		.amdhsa_user_sgpr_count 6
		.amdhsa_user_sgpr_private_segment_buffer 1
		.amdhsa_user_sgpr_dispatch_ptr 0
		.amdhsa_user_sgpr_queue_ptr 0
		.amdhsa_user_sgpr_kernarg_segment_ptr 1
		.amdhsa_user_sgpr_dispatch_id 0
		.amdhsa_user_sgpr_flat_scratch_init 0
		.amdhsa_user_sgpr_private_segment_size 0
		.amdhsa_uses_dynamic_stack 0
		.amdhsa_system_sgpr_private_segment_wavefront_offset 0
		.amdhsa_system_sgpr_workgroup_id_x 1
		.amdhsa_system_sgpr_workgroup_id_y 0
		.amdhsa_system_sgpr_workgroup_id_z 0
		.amdhsa_system_sgpr_workgroup_info 0
		.amdhsa_system_vgpr_workitem_id 0
		.amdhsa_next_free_vgpr 34
		.amdhsa_next_free_sgpr 44
		.amdhsa_reserve_vcc 1
		.amdhsa_reserve_flat_scratch 0
		.amdhsa_float_round_mode_32 0
		.amdhsa_float_round_mode_16_64 0
		.amdhsa_float_denorm_mode_32 3
		.amdhsa_float_denorm_mode_16_64 3
		.amdhsa_dx10_clamp 1
		.amdhsa_ieee_mode 1
		.amdhsa_fp16_overflow 0
		.amdhsa_exception_fp_ieee_invalid_op 0
		.amdhsa_exception_fp_denorm_src 0
		.amdhsa_exception_fp_ieee_div_zero 0
		.amdhsa_exception_fp_ieee_overflow 0
		.amdhsa_exception_fp_ieee_underflow 0
		.amdhsa_exception_fp_ieee_inexact 0
		.amdhsa_exception_int_div_zero 0
	.end_amdhsa_kernel
	.section	.text._ZN9rocsparseL22coomvn_segmented_loopsILj256EifdddEEvlT0_NS_24const_host_device_scalarIT4_EEPKS1_S6_PKT1_PKT2_PT3_PS1_PS3_21rocsparse_index_base_b,"axG",@progbits,_ZN9rocsparseL22coomvn_segmented_loopsILj256EifdddEEvlT0_NS_24const_host_device_scalarIT4_EEPKS1_S6_PKT1_PKT2_PT3_PS1_PS3_21rocsparse_index_base_b,comdat
.Lfunc_end92:
	.size	_ZN9rocsparseL22coomvn_segmented_loopsILj256EifdddEEvlT0_NS_24const_host_device_scalarIT4_EEPKS1_S6_PKT1_PKT2_PT3_PS1_PS3_21rocsparse_index_base_b, .Lfunc_end92-_ZN9rocsparseL22coomvn_segmented_loopsILj256EifdddEEvlT0_NS_24const_host_device_scalarIT4_EEPKS1_S6_PKT1_PKT2_PT3_PS1_PS3_21rocsparse_index_base_b
                                        ; -- End function
	.set _ZN9rocsparseL22coomvn_segmented_loopsILj256EifdddEEvlT0_NS_24const_host_device_scalarIT4_EEPKS1_S6_PKT1_PKT2_PT3_PS1_PS3_21rocsparse_index_base_b.num_vgpr, 34
	.set _ZN9rocsparseL22coomvn_segmented_loopsILj256EifdddEEvlT0_NS_24const_host_device_scalarIT4_EEPKS1_S6_PKT1_PKT2_PT3_PS1_PS3_21rocsparse_index_base_b.num_agpr, 0
	.set _ZN9rocsparseL22coomvn_segmented_loopsILj256EifdddEEvlT0_NS_24const_host_device_scalarIT4_EEPKS1_S6_PKT1_PKT2_PT3_PS1_PS3_21rocsparse_index_base_b.numbered_sgpr, 44
	.set _ZN9rocsparseL22coomvn_segmented_loopsILj256EifdddEEvlT0_NS_24const_host_device_scalarIT4_EEPKS1_S6_PKT1_PKT2_PT3_PS1_PS3_21rocsparse_index_base_b.num_named_barrier, 0
	.set _ZN9rocsparseL22coomvn_segmented_loopsILj256EifdddEEvlT0_NS_24const_host_device_scalarIT4_EEPKS1_S6_PKT1_PKT2_PT3_PS1_PS3_21rocsparse_index_base_b.private_seg_size, 0
	.set _ZN9rocsparseL22coomvn_segmented_loopsILj256EifdddEEvlT0_NS_24const_host_device_scalarIT4_EEPKS1_S6_PKT1_PKT2_PT3_PS1_PS3_21rocsparse_index_base_b.uses_vcc, 1
	.set _ZN9rocsparseL22coomvn_segmented_loopsILj256EifdddEEvlT0_NS_24const_host_device_scalarIT4_EEPKS1_S6_PKT1_PKT2_PT3_PS1_PS3_21rocsparse_index_base_b.uses_flat_scratch, 0
	.set _ZN9rocsparseL22coomvn_segmented_loopsILj256EifdddEEvlT0_NS_24const_host_device_scalarIT4_EEPKS1_S6_PKT1_PKT2_PT3_PS1_PS3_21rocsparse_index_base_b.has_dyn_sized_stack, 0
	.set _ZN9rocsparseL22coomvn_segmented_loopsILj256EifdddEEvlT0_NS_24const_host_device_scalarIT4_EEPKS1_S6_PKT1_PKT2_PT3_PS1_PS3_21rocsparse_index_base_b.has_recursion, 0
	.set _ZN9rocsparseL22coomvn_segmented_loopsILj256EifdddEEvlT0_NS_24const_host_device_scalarIT4_EEPKS1_S6_PKT1_PKT2_PT3_PS1_PS3_21rocsparse_index_base_b.has_indirect_call, 0
	.section	.AMDGPU.csdata,"",@progbits
; Kernel info:
; codeLenInByte = 2616
; TotalNumSgprs: 48
; NumVgprs: 34
; ScratchSize: 0
; MemoryBound: 0
; FloatMode: 240
; IeeeMode: 1
; LDSByteSize: 3072 bytes/workgroup (compile time only)
; SGPRBlocks: 5
; VGPRBlocks: 8
; NumSGPRsForWavesPerEU: 48
; NumVGPRsForWavesPerEU: 34
; Occupancy: 7
; WaveLimiterHint : 1
; COMPUTE_PGM_RSRC2:SCRATCH_EN: 0
; COMPUTE_PGM_RSRC2:USER_SGPR: 6
; COMPUTE_PGM_RSRC2:TRAP_HANDLER: 0
; COMPUTE_PGM_RSRC2:TGID_X_EN: 1
; COMPUTE_PGM_RSRC2:TGID_Y_EN: 0
; COMPUTE_PGM_RSRC2:TGID_Z_EN: 0
; COMPUTE_PGM_RSRC2:TIDIG_COMP_CNT: 0
	.section	.text._ZN9rocsparseL13coomvt_kernelILj1024EifdddEEv20rocsparse_operation_lNS_24const_host_device_scalarIT4_EEPKT0_S7_PKT1_PKT2_PT3_21rocsparse_index_base_b,"axG",@progbits,_ZN9rocsparseL13coomvt_kernelILj1024EifdddEEv20rocsparse_operation_lNS_24const_host_device_scalarIT4_EEPKT0_S7_PKT1_PKT2_PT3_21rocsparse_index_base_b,comdat
	.globl	_ZN9rocsparseL13coomvt_kernelILj1024EifdddEEv20rocsparse_operation_lNS_24const_host_device_scalarIT4_EEPKT0_S7_PKT1_PKT2_PT3_21rocsparse_index_base_b ; -- Begin function _ZN9rocsparseL13coomvt_kernelILj1024EifdddEEv20rocsparse_operation_lNS_24const_host_device_scalarIT4_EEPKT0_S7_PKT1_PKT2_PT3_21rocsparse_index_base_b
	.p2align	8
	.type	_ZN9rocsparseL13coomvt_kernelILj1024EifdddEEv20rocsparse_operation_lNS_24const_host_device_scalarIT4_EEPKT0_S7_PKT1_PKT2_PT3_21rocsparse_index_base_b,@function
_ZN9rocsparseL13coomvt_kernelILj1024EifdddEEv20rocsparse_operation_lNS_24const_host_device_scalarIT4_EEPKT0_S7_PKT1_PKT2_PT3_21rocsparse_index_base_b: ; @_ZN9rocsparseL13coomvt_kernelILj1024EifdddEEv20rocsparse_operation_lNS_24const_host_device_scalarIT4_EEPKT0_S7_PKT1_PKT2_PT3_21rocsparse_index_base_b
; %bb.0:
	s_load_dwordx2 s[16:17], s[4:5], 0x40
	s_load_dwordx4 s[0:3], s[4:5], 0x8
	s_waitcnt lgkmcnt(0)
	s_bitcmp1_b32 s17, 0
	s_cselect_b64 s[8:9], -1, 0
	v_mov_b32_e32 v5, s3
	s_and_b64 vcc, exec, s[8:9]
	v_mov_b32_e32 v4, s2
	s_cbranch_vccnz .LBB93_2
; %bb.1:
	v_mov_b32_e32 v1, s2
	v_mov_b32_e32 v2, s3
	flat_load_dwordx2 v[4:5], v[1:2]
.LBB93_2:
	s_waitcnt vmcnt(0) lgkmcnt(0)
	v_cmp_neq_f64_e32 vcc, 0, v[4:5]
	s_and_saveexec_b64 s[2:3], vcc
	s_cbranch_execz .LBB93_6
; %bb.3:
	s_load_dword s2, s[4:5], 0x54
	v_mov_b32_e32 v1, 0
	s_waitcnt lgkmcnt(0)
	s_and_b32 s2, s2, 0xffff
	s_mul_i32 s6, s6, s2
	v_add_u32_e32 v0, s6, v0
	v_cmp_gt_i64_e32 vcc, s[0:1], v[0:1]
	s_and_b64 exec, exec, vcc
	s_cbranch_execz .LBB93_6
; %bb.4:
	s_load_dwordx8 s[8:15], s[4:5], 0x18
	v_lshlrev_b64 v[0:1], 2, v[0:1]
	s_load_dwordx2 s[0:1], s[4:5], 0x38
	s_waitcnt lgkmcnt(0)
	v_mov_b32_e32 v3, s9
	v_add_co_u32_e32 v2, vcc, s8, v0
	v_addc_co_u32_e32 v3, vcc, v3, v1, vcc
	global_load_dword v6, v[2:3], off
	v_mov_b32_e32 v3, s11
	v_add_co_u32_e32 v2, vcc, s10, v0
	v_addc_co_u32_e32 v3, vcc, v3, v1, vcc
	global_load_dword v2, v[2:3], off
	;; [unrolled: 4-line block ×3, first 2 shown]
	v_mov_b32_e32 v3, s15
	v_mov_b32_e32 v7, s1
	s_waitcnt vmcnt(2)
	v_subrev_u32_e32 v0, s16, v6
	v_ashrrev_i32_e32 v1, 31, v0
	v_lshlrev_b64 v[0:1], 3, v[0:1]
	v_add_co_u32_e32 v0, vcc, s14, v0
	v_addc_co_u32_e32 v1, vcc, v3, v1, vcc
	global_load_dwordx2 v[0:1], v[0:1], off
	s_waitcnt vmcnt(2)
	v_subrev_u32_e32 v2, s16, v2
	v_ashrrev_i32_e32 v3, 31, v2
	v_lshlrev_b64 v[2:3], 3, v[2:3]
	s_waitcnt vmcnt(1)
	v_cvt_f64_f32_e32 v[8:9], v8
	v_add_co_u32_e32 v6, vcc, s0, v2
	v_addc_co_u32_e32 v7, vcc, v7, v3, vcc
	global_load_dwordx2 v[2:3], v[6:7], off
	v_mul_f64 v[4:5], v[4:5], v[8:9]
	s_mov_b64 s[0:1], 0
	s_waitcnt vmcnt(1)
	v_mul_f64 v[4:5], v[0:1], v[4:5]
.LBB93_5:                               ; =>This Inner Loop Header: Depth=1
	s_waitcnt vmcnt(0)
	v_add_f64 v[0:1], v[2:3], v[4:5]
	global_atomic_cmpswap_x2 v[0:1], v[6:7], v[0:3], off glc
	s_waitcnt vmcnt(0)
	v_cmp_eq_u64_e32 vcc, v[0:1], v[2:3]
	v_mov_b32_e32 v3, v1
	s_or_b64 s[0:1], vcc, s[0:1]
	v_mov_b32_e32 v2, v0
	s_andn2_b64 exec, exec, s[0:1]
	s_cbranch_execnz .LBB93_5
.LBB93_6:
	s_endpgm
	.section	.rodata,"a",@progbits
	.p2align	6, 0x0
	.amdhsa_kernel _ZN9rocsparseL13coomvt_kernelILj1024EifdddEEv20rocsparse_operation_lNS_24const_host_device_scalarIT4_EEPKT0_S7_PKT1_PKT2_PT3_21rocsparse_index_base_b
		.amdhsa_group_segment_fixed_size 0
		.amdhsa_private_segment_fixed_size 0
		.amdhsa_kernarg_size 328
		.amdhsa_user_sgpr_count 6
		.amdhsa_user_sgpr_private_segment_buffer 1
		.amdhsa_user_sgpr_dispatch_ptr 0
		.amdhsa_user_sgpr_queue_ptr 0
		.amdhsa_user_sgpr_kernarg_segment_ptr 1
		.amdhsa_user_sgpr_dispatch_id 0
		.amdhsa_user_sgpr_flat_scratch_init 0
		.amdhsa_user_sgpr_private_segment_size 0
		.amdhsa_uses_dynamic_stack 0
		.amdhsa_system_sgpr_private_segment_wavefront_offset 0
		.amdhsa_system_sgpr_workgroup_id_x 1
		.amdhsa_system_sgpr_workgroup_id_y 0
		.amdhsa_system_sgpr_workgroup_id_z 0
		.amdhsa_system_sgpr_workgroup_info 0
		.amdhsa_system_vgpr_workitem_id 0
		.amdhsa_next_free_vgpr 10
		.amdhsa_next_free_sgpr 18
		.amdhsa_reserve_vcc 1
		.amdhsa_reserve_flat_scratch 0
		.amdhsa_float_round_mode_32 0
		.amdhsa_float_round_mode_16_64 0
		.amdhsa_float_denorm_mode_32 3
		.amdhsa_float_denorm_mode_16_64 3
		.amdhsa_dx10_clamp 1
		.amdhsa_ieee_mode 1
		.amdhsa_fp16_overflow 0
		.amdhsa_exception_fp_ieee_invalid_op 0
		.amdhsa_exception_fp_denorm_src 0
		.amdhsa_exception_fp_ieee_div_zero 0
		.amdhsa_exception_fp_ieee_overflow 0
		.amdhsa_exception_fp_ieee_underflow 0
		.amdhsa_exception_fp_ieee_inexact 0
		.amdhsa_exception_int_div_zero 0
	.end_amdhsa_kernel
	.section	.text._ZN9rocsparseL13coomvt_kernelILj1024EifdddEEv20rocsparse_operation_lNS_24const_host_device_scalarIT4_EEPKT0_S7_PKT1_PKT2_PT3_21rocsparse_index_base_b,"axG",@progbits,_ZN9rocsparseL13coomvt_kernelILj1024EifdddEEv20rocsparse_operation_lNS_24const_host_device_scalarIT4_EEPKT0_S7_PKT1_PKT2_PT3_21rocsparse_index_base_b,comdat
.Lfunc_end93:
	.size	_ZN9rocsparseL13coomvt_kernelILj1024EifdddEEv20rocsparse_operation_lNS_24const_host_device_scalarIT4_EEPKT0_S7_PKT1_PKT2_PT3_21rocsparse_index_base_b, .Lfunc_end93-_ZN9rocsparseL13coomvt_kernelILj1024EifdddEEv20rocsparse_operation_lNS_24const_host_device_scalarIT4_EEPKT0_S7_PKT1_PKT2_PT3_21rocsparse_index_base_b
                                        ; -- End function
	.set _ZN9rocsparseL13coomvt_kernelILj1024EifdddEEv20rocsparse_operation_lNS_24const_host_device_scalarIT4_EEPKT0_S7_PKT1_PKT2_PT3_21rocsparse_index_base_b.num_vgpr, 10
	.set _ZN9rocsparseL13coomvt_kernelILj1024EifdddEEv20rocsparse_operation_lNS_24const_host_device_scalarIT4_EEPKT0_S7_PKT1_PKT2_PT3_21rocsparse_index_base_b.num_agpr, 0
	.set _ZN9rocsparseL13coomvt_kernelILj1024EifdddEEv20rocsparse_operation_lNS_24const_host_device_scalarIT4_EEPKT0_S7_PKT1_PKT2_PT3_21rocsparse_index_base_b.numbered_sgpr, 18
	.set _ZN9rocsparseL13coomvt_kernelILj1024EifdddEEv20rocsparse_operation_lNS_24const_host_device_scalarIT4_EEPKT0_S7_PKT1_PKT2_PT3_21rocsparse_index_base_b.num_named_barrier, 0
	.set _ZN9rocsparseL13coomvt_kernelILj1024EifdddEEv20rocsparse_operation_lNS_24const_host_device_scalarIT4_EEPKT0_S7_PKT1_PKT2_PT3_21rocsparse_index_base_b.private_seg_size, 0
	.set _ZN9rocsparseL13coomvt_kernelILj1024EifdddEEv20rocsparse_operation_lNS_24const_host_device_scalarIT4_EEPKT0_S7_PKT1_PKT2_PT3_21rocsparse_index_base_b.uses_vcc, 1
	.set _ZN9rocsparseL13coomvt_kernelILj1024EifdddEEv20rocsparse_operation_lNS_24const_host_device_scalarIT4_EEPKT0_S7_PKT1_PKT2_PT3_21rocsparse_index_base_b.uses_flat_scratch, 0
	.set _ZN9rocsparseL13coomvt_kernelILj1024EifdddEEv20rocsparse_operation_lNS_24const_host_device_scalarIT4_EEPKT0_S7_PKT1_PKT2_PT3_21rocsparse_index_base_b.has_dyn_sized_stack, 0
	.set _ZN9rocsparseL13coomvt_kernelILj1024EifdddEEv20rocsparse_operation_lNS_24const_host_device_scalarIT4_EEPKT0_S7_PKT1_PKT2_PT3_21rocsparse_index_base_b.has_recursion, 0
	.set _ZN9rocsparseL13coomvt_kernelILj1024EifdddEEv20rocsparse_operation_lNS_24const_host_device_scalarIT4_EEPKT0_S7_PKT1_PKT2_PT3_21rocsparse_index_base_b.has_indirect_call, 0
	.section	.AMDGPU.csdata,"",@progbits
; Kernel info:
; codeLenInByte = 372
; TotalNumSgprs: 22
; NumVgprs: 10
; ScratchSize: 0
; MemoryBound: 0
; FloatMode: 240
; IeeeMode: 1
; LDSByteSize: 0 bytes/workgroup (compile time only)
; SGPRBlocks: 2
; VGPRBlocks: 2
; NumSGPRsForWavesPerEU: 22
; NumVGPRsForWavesPerEU: 10
; Occupancy: 10
; WaveLimiterHint : 1
; COMPUTE_PGM_RSRC2:SCRATCH_EN: 0
; COMPUTE_PGM_RSRC2:USER_SGPR: 6
; COMPUTE_PGM_RSRC2:TRAP_HANDLER: 0
; COMPUTE_PGM_RSRC2:TGID_X_EN: 1
; COMPUTE_PGM_RSRC2:TGID_Y_EN: 0
; COMPUTE_PGM_RSRC2:TGID_Z_EN: 0
; COMPUTE_PGM_RSRC2:TIDIG_COMP_CNT: 0
	.section	.text._ZN9rocsparseL19coomvn_atomic_loopsILj256ELj1EifdddEEvlNS_24const_host_device_scalarIT5_EEPKT1_S6_PKT2_PKT3_PT4_21rocsparse_index_base_b,"axG",@progbits,_ZN9rocsparseL19coomvn_atomic_loopsILj256ELj1EifdddEEvlNS_24const_host_device_scalarIT5_EEPKT1_S6_PKT2_PKT3_PT4_21rocsparse_index_base_b,comdat
	.globl	_ZN9rocsparseL19coomvn_atomic_loopsILj256ELj1EifdddEEvlNS_24const_host_device_scalarIT5_EEPKT1_S6_PKT2_PKT3_PT4_21rocsparse_index_base_b ; -- Begin function _ZN9rocsparseL19coomvn_atomic_loopsILj256ELj1EifdddEEvlNS_24const_host_device_scalarIT5_EEPKT1_S6_PKT2_PKT3_PT4_21rocsparse_index_base_b
	.p2align	8
	.type	_ZN9rocsparseL19coomvn_atomic_loopsILj256ELj1EifdddEEvlNS_24const_host_device_scalarIT5_EEPKT1_S6_PKT2_PKT3_PT4_21rocsparse_index_base_b,@function
_ZN9rocsparseL19coomvn_atomic_loopsILj256ELj1EifdddEEvlNS_24const_host_device_scalarIT5_EEPKT1_S6_PKT2_PKT3_PT4_21rocsparse_index_base_b: ; @_ZN9rocsparseL19coomvn_atomic_loopsILj256ELj1EifdddEEvlNS_24const_host_device_scalarIT5_EEPKT1_S6_PKT2_PKT3_PT4_21rocsparse_index_base_b
; %bb.0:
	s_load_dwordx2 s[16:17], s[4:5], 0x38
	s_load_dwordx4 s[0:3], s[4:5], 0x0
	s_waitcnt lgkmcnt(0)
	s_bitcmp1_b32 s17, 0
	s_cselect_b64 s[8:9], -1, 0
	v_mov_b32_e32 v6, s3
	s_and_b64 vcc, exec, s[8:9]
	v_mov_b32_e32 v5, s2
	s_cbranch_vccnz .LBB94_2
; %bb.1:
	v_mov_b32_e32 v1, s2
	v_mov_b32_e32 v2, s3
	flat_load_dwordx2 v[5:6], v[1:2]
.LBB94_2:
	s_waitcnt vmcnt(0) lgkmcnt(0)
	v_cmp_neq_f64_e32 vcc, 0, v[5:6]
	s_and_saveexec_b64 s[2:3], vcc
	s_cbranch_execz .LBB94_44
; %bb.3:
	v_lshl_or_b32 v1, s6, 8, v0
	v_mov_b32_e32 v2, 0
	v_cmp_gt_i64_e32 vcc, s[0:1], v[1:2]
	v_mov_b32_e32 v7, 0
	v_mov_b32_e32 v8, 0
	v_mov_b32_e32 v9, -1
	s_and_saveexec_b64 s[0:1], vcc
	s_cbranch_execz .LBB94_5
; %bb.4:
	s_load_dwordx8 s[8:15], s[4:5], 0x10
	v_lshlrev_b64 v[1:2], 2, v[1:2]
	s_waitcnt lgkmcnt(0)
	v_mov_b32_e32 v4, s11
	v_add_co_u32_e32 v3, vcc, s10, v1
	v_addc_co_u32_e32 v4, vcc, v4, v2, vcc
	global_load_dword v7, v[3:4], off glc slc
	v_mov_b32_e32 v4, s13
	v_add_co_u32_e32 v3, vcc, s12, v1
	v_addc_co_u32_e32 v4, vcc, v4, v2, vcc
	global_load_dword v9, v[3:4], off glc slc
	v_mov_b32_e32 v8, s15
	s_waitcnt vmcnt(1)
	v_subrev_u32_e32 v3, s16, v7
	v_ashrrev_i32_e32 v4, 31, v3
	v_lshlrev_b64 v[3:4], 3, v[3:4]
	v_mov_b32_e32 v7, s9
	v_add_co_u32_e32 v3, vcc, s14, v3
	v_addc_co_u32_e32 v4, vcc, v8, v4, vcc
	global_load_dwordx2 v[3:4], v[3:4], off
	v_add_co_u32_e32 v1, vcc, s8, v1
	v_addc_co_u32_e32 v2, vcc, v7, v2, vcc
	global_load_dword v10, v[1:2], off glc slc
	s_waitcnt vmcnt(2)
	v_cvt_f64_f32_e32 v[1:2], v9
	s_waitcnt vmcnt(1)
	v_mul_f64 v[7:8], v[3:4], v[1:2]
	s_waitcnt vmcnt(0)
	v_subrev_u32_e32 v9, s16, v10
.LBB94_5:
	s_or_b64 exec, exec, s[0:1]
	v_lshlrev_b32_e32 v2, 2, v0
	v_or_b32_e32 v1, 0x800, v2
	ds_write_b32 v2, v9 offset:2048
	v_lshlrev_b32_e32 v2, 3, v0
	v_cmp_ne_u32_e32 vcc, 0, v0
	ds_write_b64 v2, v[7:8]
	s_waitcnt lgkmcnt(0)
	s_barrier
	s_and_saveexec_b64 s[0:1], vcc
	s_cbranch_execz .LBB94_9
; %bb.6:
	v_add_u32_e32 v3, -4, v1
	ds_read_b32 v3, v3
	s_waitcnt lgkmcnt(0)
	v_cmp_eq_u32_e32 vcc, v9, v3
	s_and_saveexec_b64 s[2:3], vcc
	s_cbranch_execz .LBB94_8
; %bb.7:
	v_add_u32_e32 v3, -8, v2
	ds_read_b64 v[3:4], v3
	s_waitcnt lgkmcnt(0)
	v_add_f64 v[7:8], v[7:8], v[3:4]
.LBB94_8:
	s_or_b64 exec, exec, s[2:3]
.LBB94_9:
	s_or_b64 exec, exec, s[0:1]
	v_cmp_lt_u32_e32 vcc, 1, v0
	s_barrier
	ds_write_b64 v2, v[7:8]
	s_waitcnt lgkmcnt(0)
	s_barrier
	s_and_saveexec_b64 s[0:1], vcc
	s_cbranch_execz .LBB94_13
; %bb.10:
	v_add_u32_e32 v3, -8, v1
	ds_read_b32 v3, v3
	s_waitcnt lgkmcnt(0)
	v_cmp_eq_u32_e32 vcc, v9, v3
	s_and_saveexec_b64 s[2:3], vcc
	s_cbranch_execz .LBB94_12
; %bb.11:
	v_add_u32_e32 v3, -16, v2
	ds_read_b64 v[3:4], v3
	s_waitcnt lgkmcnt(0)
	v_add_f64 v[7:8], v[7:8], v[3:4]
.LBB94_12:
	s_or_b64 exec, exec, s[2:3]
.LBB94_13:
	s_or_b64 exec, exec, s[0:1]
	v_cmp_lt_u32_e32 vcc, 3, v0
	s_barrier
	ds_write_b64 v2, v[7:8]
	s_waitcnt lgkmcnt(0)
	s_barrier
	s_and_saveexec_b64 s[0:1], vcc
	s_cbranch_execz .LBB94_17
; %bb.14:
	v_add_u32_e32 v3, -16, v1
	ds_read_b32 v3, v3
	s_waitcnt lgkmcnt(0)
	v_cmp_eq_u32_e32 vcc, v9, v3
	s_and_saveexec_b64 s[2:3], vcc
	s_cbranch_execz .LBB94_16
; %bb.15:
	v_subrev_u32_e32 v3, 32, v2
	ds_read_b64 v[3:4], v3
	s_waitcnt lgkmcnt(0)
	v_add_f64 v[7:8], v[7:8], v[3:4]
.LBB94_16:
	s_or_b64 exec, exec, s[2:3]
.LBB94_17:
	s_or_b64 exec, exec, s[0:1]
	v_cmp_lt_u32_e32 vcc, 7, v0
	s_barrier
	ds_write_b64 v2, v[7:8]
	s_waitcnt lgkmcnt(0)
	s_barrier
	s_and_saveexec_b64 s[0:1], vcc
	s_cbranch_execz .LBB94_21
; %bb.18:
	v_subrev_u32_e32 v3, 32, v1
	ds_read_b32 v3, v3
	s_waitcnt lgkmcnt(0)
	v_cmp_eq_u32_e32 vcc, v9, v3
	s_and_saveexec_b64 s[2:3], vcc
	s_cbranch_execz .LBB94_20
; %bb.19:
	v_subrev_u32_e32 v3, 64, v2
	ds_read_b64 v[3:4], v3
	s_waitcnt lgkmcnt(0)
	v_add_f64 v[7:8], v[7:8], v[3:4]
.LBB94_20:
	s_or_b64 exec, exec, s[2:3]
.LBB94_21:
	s_or_b64 exec, exec, s[0:1]
	v_cmp_lt_u32_e32 vcc, 15, v0
	s_barrier
	ds_write_b64 v2, v[7:8]
	s_waitcnt lgkmcnt(0)
	s_barrier
	s_and_saveexec_b64 s[0:1], vcc
	s_cbranch_execz .LBB94_25
; %bb.22:
	v_subrev_u32_e32 v3, 64, v1
	ds_read_b32 v3, v3
	s_waitcnt lgkmcnt(0)
	v_cmp_eq_u32_e32 vcc, v9, v3
	s_and_saveexec_b64 s[2:3], vcc
	s_cbranch_execz .LBB94_24
; %bb.23:
	v_add_u32_e32 v3, 0xffffff80, v2
	ds_read_b64 v[3:4], v3
	s_waitcnt lgkmcnt(0)
	v_add_f64 v[7:8], v[7:8], v[3:4]
.LBB94_24:
	s_or_b64 exec, exec, s[2:3]
.LBB94_25:
	s_or_b64 exec, exec, s[0:1]
	v_cmp_lt_u32_e32 vcc, 31, v0
	s_barrier
	ds_write_b64 v2, v[7:8]
	s_waitcnt lgkmcnt(0)
	s_barrier
	s_and_saveexec_b64 s[0:1], vcc
	s_cbranch_execz .LBB94_29
; %bb.26:
	v_add_u32_e32 v3, 0xffffff80, v1
	ds_read_b32 v3, v3
	s_waitcnt lgkmcnt(0)
	v_cmp_eq_u32_e32 vcc, v9, v3
	s_and_saveexec_b64 s[2:3], vcc
	s_cbranch_execz .LBB94_28
; %bb.27:
	v_add_u32_e32 v3, 0xffffff00, v2
	ds_read_b64 v[3:4], v3
	s_waitcnt lgkmcnt(0)
	v_add_f64 v[7:8], v[7:8], v[3:4]
.LBB94_28:
	s_or_b64 exec, exec, s[2:3]
.LBB94_29:
	s_or_b64 exec, exec, s[0:1]
	v_cmp_lt_u32_e32 vcc, 63, v0
	s_barrier
	ds_write_b64 v2, v[7:8]
	s_waitcnt lgkmcnt(0)
	s_barrier
	s_and_saveexec_b64 s[0:1], vcc
	s_cbranch_execz .LBB94_33
; %bb.30:
	v_add_u32_e32 v3, 0xffffff00, v1
	ds_read_b32 v3, v3
	s_waitcnt lgkmcnt(0)
	v_cmp_eq_u32_e32 vcc, v9, v3
	s_and_saveexec_b64 s[2:3], vcc
	s_cbranch_execz .LBB94_32
; %bb.31:
	v_add_u32_e32 v3, 0xfffffe00, v2
	ds_read_b64 v[3:4], v3
	s_waitcnt lgkmcnt(0)
	v_add_f64 v[7:8], v[7:8], v[3:4]
.LBB94_32:
	s_or_b64 exec, exec, s[2:3]
.LBB94_33:
	s_or_b64 exec, exec, s[0:1]
	s_load_dwordx2 s[2:3], s[4:5], 0x30
	s_movk_i32 s0, 0x7f
	v_cmp_lt_u32_e32 vcc, s0, v0
	s_waitcnt lgkmcnt(0)
	s_barrier
	ds_write_b64 v2, v[7:8]
	s_waitcnt lgkmcnt(0)
	s_barrier
	s_and_saveexec_b64 s[0:1], vcc
	s_cbranch_execz .LBB94_37
; %bb.34:
	v_add_u32_e32 v3, 0xfffffe00, v1
	ds_read_b32 v3, v3
	s_waitcnt lgkmcnt(0)
	v_cmp_eq_u32_e32 vcc, v9, v3
	s_and_saveexec_b64 s[4:5], vcc
	s_cbranch_execz .LBB94_36
; %bb.35:
	v_add_u32_e32 v3, 0xfffffc00, v2
	ds_read_b64 v[3:4], v3
	s_waitcnt lgkmcnt(0)
	v_add_f64 v[7:8], v[7:8], v[3:4]
.LBB94_36:
	s_or_b64 exec, exec, s[4:5]
.LBB94_37:
	s_or_b64 exec, exec, s[0:1]
	s_movk_i32 s6, 0xff
	v_cmp_gt_u32_e32 vcc, s6, v0
	s_barrier
	ds_write_b64 v2, v[7:8]
	s_waitcnt lgkmcnt(0)
	s_barrier
	s_and_saveexec_b64 s[4:5], vcc
	s_cbranch_execz .LBB94_41
; %bb.38:
	ds_read_b32 v1, v1 offset:4
	v_cmp_lt_i32_e64 s[0:1], -1, v9
	s_waitcnt lgkmcnt(0)
	v_cmp_ne_u32_e32 vcc, v9, v1
	s_and_b64 s[0:1], s[0:1], vcc
	s_and_b64 exec, exec, s[0:1]
	s_cbranch_execz .LBB94_41
; %bb.39:
	v_mov_b32_e32 v10, 0
	v_lshlrev_b64 v[1:2], 3, v[9:10]
	v_mov_b32_e32 v3, s3
	v_add_co_u32_e32 v10, vcc, s2, v1
	v_addc_co_u32_e32 v11, vcc, v3, v2, vcc
	global_load_dwordx2 v[3:4], v[10:11], off
	v_mul_f64 v[12:13], v[5:6], v[7:8]
	s_mov_b64 s[0:1], 0
.LBB94_40:                              ; =>This Inner Loop Header: Depth=1
	s_waitcnt vmcnt(0)
	v_add_f64 v[1:2], v[3:4], v[12:13]
	global_atomic_cmpswap_x2 v[1:2], v[10:11], v[1:4], off glc
	s_waitcnt vmcnt(0)
	v_cmp_eq_u64_e32 vcc, v[1:2], v[3:4]
	v_mov_b32_e32 v4, v2
	s_or_b64 s[0:1], vcc, s[0:1]
	v_mov_b32_e32 v3, v1
	s_andn2_b64 exec, exec, s[0:1]
	s_cbranch_execnz .LBB94_40
.LBB94_41:
	s_or_b64 exec, exec, s[4:5]
	v_cmp_eq_u32_e32 vcc, s6, v0
	v_cmp_lt_i32_e64 s[0:1], -1, v9
	s_and_b64 s[0:1], vcc, s[0:1]
	s_and_b64 exec, exec, s[0:1]
	s_cbranch_execz .LBB94_44
; %bb.42:
	v_mov_b32_e32 v10, 0
	v_lshlrev_b64 v[0:1], 3, v[9:10]
	v_mov_b32_e32 v2, s3
	v_add_co_u32_e32 v9, vcc, s2, v0
	v_addc_co_u32_e32 v10, vcc, v2, v1, vcc
	global_load_dwordx2 v[2:3], v[9:10], off
	v_mul_f64 v[4:5], v[5:6], v[7:8]
	s_mov_b64 s[0:1], 0
.LBB94_43:                              ; =>This Inner Loop Header: Depth=1
	s_waitcnt vmcnt(0)
	v_add_f64 v[0:1], v[2:3], v[4:5]
	global_atomic_cmpswap_x2 v[0:1], v[9:10], v[0:3], off glc
	s_waitcnt vmcnt(0)
	v_cmp_eq_u64_e32 vcc, v[0:1], v[2:3]
	v_mov_b32_e32 v3, v1
	s_or_b64 s[0:1], vcc, s[0:1]
	v_mov_b32_e32 v2, v0
	s_andn2_b64 exec, exec, s[0:1]
	s_cbranch_execnz .LBB94_43
.LBB94_44:
	s_endpgm
	.section	.rodata,"a",@progbits
	.p2align	6, 0x0
	.amdhsa_kernel _ZN9rocsparseL19coomvn_atomic_loopsILj256ELj1EifdddEEvlNS_24const_host_device_scalarIT5_EEPKT1_S6_PKT2_PKT3_PT4_21rocsparse_index_base_b
		.amdhsa_group_segment_fixed_size 3072
		.amdhsa_private_segment_fixed_size 0
		.amdhsa_kernarg_size 64
		.amdhsa_user_sgpr_count 6
		.amdhsa_user_sgpr_private_segment_buffer 1
		.amdhsa_user_sgpr_dispatch_ptr 0
		.amdhsa_user_sgpr_queue_ptr 0
		.amdhsa_user_sgpr_kernarg_segment_ptr 1
		.amdhsa_user_sgpr_dispatch_id 0
		.amdhsa_user_sgpr_flat_scratch_init 0
		.amdhsa_user_sgpr_private_segment_size 0
		.amdhsa_uses_dynamic_stack 0
		.amdhsa_system_sgpr_private_segment_wavefront_offset 0
		.amdhsa_system_sgpr_workgroup_id_x 1
		.amdhsa_system_sgpr_workgroup_id_y 0
		.amdhsa_system_sgpr_workgroup_id_z 0
		.amdhsa_system_sgpr_workgroup_info 0
		.amdhsa_system_vgpr_workitem_id 0
		.amdhsa_next_free_vgpr 14
		.amdhsa_next_free_sgpr 18
		.amdhsa_reserve_vcc 1
		.amdhsa_reserve_flat_scratch 0
		.amdhsa_float_round_mode_32 0
		.amdhsa_float_round_mode_16_64 0
		.amdhsa_float_denorm_mode_32 3
		.amdhsa_float_denorm_mode_16_64 3
		.amdhsa_dx10_clamp 1
		.amdhsa_ieee_mode 1
		.amdhsa_fp16_overflow 0
		.amdhsa_exception_fp_ieee_invalid_op 0
		.amdhsa_exception_fp_denorm_src 0
		.amdhsa_exception_fp_ieee_div_zero 0
		.amdhsa_exception_fp_ieee_overflow 0
		.amdhsa_exception_fp_ieee_underflow 0
		.amdhsa_exception_fp_ieee_inexact 0
		.amdhsa_exception_int_div_zero 0
	.end_amdhsa_kernel
	.section	.text._ZN9rocsparseL19coomvn_atomic_loopsILj256ELj1EifdddEEvlNS_24const_host_device_scalarIT5_EEPKT1_S6_PKT2_PKT3_PT4_21rocsparse_index_base_b,"axG",@progbits,_ZN9rocsparseL19coomvn_atomic_loopsILj256ELj1EifdddEEvlNS_24const_host_device_scalarIT5_EEPKT1_S6_PKT2_PKT3_PT4_21rocsparse_index_base_b,comdat
.Lfunc_end94:
	.size	_ZN9rocsparseL19coomvn_atomic_loopsILj256ELj1EifdddEEvlNS_24const_host_device_scalarIT5_EEPKT1_S6_PKT2_PKT3_PT4_21rocsparse_index_base_b, .Lfunc_end94-_ZN9rocsparseL19coomvn_atomic_loopsILj256ELj1EifdddEEvlNS_24const_host_device_scalarIT5_EEPKT1_S6_PKT2_PKT3_PT4_21rocsparse_index_base_b
                                        ; -- End function
	.set _ZN9rocsparseL19coomvn_atomic_loopsILj256ELj1EifdddEEvlNS_24const_host_device_scalarIT5_EEPKT1_S6_PKT2_PKT3_PT4_21rocsparse_index_base_b.num_vgpr, 14
	.set _ZN9rocsparseL19coomvn_atomic_loopsILj256ELj1EifdddEEvlNS_24const_host_device_scalarIT5_EEPKT1_S6_PKT2_PKT3_PT4_21rocsparse_index_base_b.num_agpr, 0
	.set _ZN9rocsparseL19coomvn_atomic_loopsILj256ELj1EifdddEEvlNS_24const_host_device_scalarIT5_EEPKT1_S6_PKT2_PKT3_PT4_21rocsparse_index_base_b.numbered_sgpr, 18
	.set _ZN9rocsparseL19coomvn_atomic_loopsILj256ELj1EifdddEEvlNS_24const_host_device_scalarIT5_EEPKT1_S6_PKT2_PKT3_PT4_21rocsparse_index_base_b.num_named_barrier, 0
	.set _ZN9rocsparseL19coomvn_atomic_loopsILj256ELj1EifdddEEvlNS_24const_host_device_scalarIT5_EEPKT1_S6_PKT2_PKT3_PT4_21rocsparse_index_base_b.private_seg_size, 0
	.set _ZN9rocsparseL19coomvn_atomic_loopsILj256ELj1EifdddEEvlNS_24const_host_device_scalarIT5_EEPKT1_S6_PKT2_PKT3_PT4_21rocsparse_index_base_b.uses_vcc, 1
	.set _ZN9rocsparseL19coomvn_atomic_loopsILj256ELj1EifdddEEvlNS_24const_host_device_scalarIT5_EEPKT1_S6_PKT2_PKT3_PT4_21rocsparse_index_base_b.uses_flat_scratch, 0
	.set _ZN9rocsparseL19coomvn_atomic_loopsILj256ELj1EifdddEEvlNS_24const_host_device_scalarIT5_EEPKT1_S6_PKT2_PKT3_PT4_21rocsparse_index_base_b.has_dyn_sized_stack, 0
	.set _ZN9rocsparseL19coomvn_atomic_loopsILj256ELj1EifdddEEvlNS_24const_host_device_scalarIT5_EEPKT1_S6_PKT2_PKT3_PT4_21rocsparse_index_base_b.has_recursion, 0
	.set _ZN9rocsparseL19coomvn_atomic_loopsILj256ELj1EifdddEEvlNS_24const_host_device_scalarIT5_EEPKT1_S6_PKT2_PKT3_PT4_21rocsparse_index_base_b.has_indirect_call, 0
	.section	.AMDGPU.csdata,"",@progbits
; Kernel info:
; codeLenInByte = 1352
; TotalNumSgprs: 22
; NumVgprs: 14
; ScratchSize: 0
; MemoryBound: 0
; FloatMode: 240
; IeeeMode: 1
; LDSByteSize: 3072 bytes/workgroup (compile time only)
; SGPRBlocks: 2
; VGPRBlocks: 3
; NumSGPRsForWavesPerEU: 22
; NumVGPRsForWavesPerEU: 14
; Occupancy: 10
; WaveLimiterHint : 1
; COMPUTE_PGM_RSRC2:SCRATCH_EN: 0
; COMPUTE_PGM_RSRC2:USER_SGPR: 6
; COMPUTE_PGM_RSRC2:TRAP_HANDLER: 0
; COMPUTE_PGM_RSRC2:TGID_X_EN: 1
; COMPUTE_PGM_RSRC2:TGID_Y_EN: 0
; COMPUTE_PGM_RSRC2:TGID_Z_EN: 0
; COMPUTE_PGM_RSRC2:TIDIG_COMP_CNT: 0
	.section	.text._ZN9rocsparseL19coomvn_atomic_loopsILj256ELj2EifdddEEvlNS_24const_host_device_scalarIT5_EEPKT1_S6_PKT2_PKT3_PT4_21rocsparse_index_base_b,"axG",@progbits,_ZN9rocsparseL19coomvn_atomic_loopsILj256ELj2EifdddEEvlNS_24const_host_device_scalarIT5_EEPKT1_S6_PKT2_PKT3_PT4_21rocsparse_index_base_b,comdat
	.globl	_ZN9rocsparseL19coomvn_atomic_loopsILj256ELj2EifdddEEvlNS_24const_host_device_scalarIT5_EEPKT1_S6_PKT2_PKT3_PT4_21rocsparse_index_base_b ; -- Begin function _ZN9rocsparseL19coomvn_atomic_loopsILj256ELj2EifdddEEvlNS_24const_host_device_scalarIT5_EEPKT1_S6_PKT2_PKT3_PT4_21rocsparse_index_base_b
	.p2align	8
	.type	_ZN9rocsparseL19coomvn_atomic_loopsILj256ELj2EifdddEEvlNS_24const_host_device_scalarIT5_EEPKT1_S6_PKT2_PKT3_PT4_21rocsparse_index_base_b,@function
_ZN9rocsparseL19coomvn_atomic_loopsILj256ELj2EifdddEEvlNS_24const_host_device_scalarIT5_EEPKT1_S6_PKT2_PKT3_PT4_21rocsparse_index_base_b: ; @_ZN9rocsparseL19coomvn_atomic_loopsILj256ELj2EifdddEEvlNS_24const_host_device_scalarIT5_EEPKT1_S6_PKT2_PKT3_PT4_21rocsparse_index_base_b
; %bb.0:
	s_load_dwordx2 s[34:35], s[4:5], 0x38
	s_load_dwordx4 s[36:39], s[4:5], 0x0
	s_waitcnt lgkmcnt(0)
	s_bitcmp1_b32 s35, 0
	s_cselect_b64 s[0:1], -1, 0
	v_mov_b32_e32 v5, s38
	s_and_b64 vcc, exec, s[0:1]
	v_mov_b32_e32 v6, s39
	s_cbranch_vccnz .LBB95_2
; %bb.1:
	v_mov_b32_e32 v1, s38
	v_mov_b32_e32 v2, s39
	flat_load_dwordx2 v[5:6], v[1:2]
.LBB95_2:
	s_waitcnt vmcnt(0) lgkmcnt(0)
	v_cmp_neq_f64_e32 vcc, 0, v[5:6]
	s_and_saveexec_b64 s[0:1], vcc
	s_cbranch_execz .LBB95_95
; %bb.3:
	s_load_dwordx8 s[24:31], s[4:5], 0x10
	v_lshl_or_b32 v7, s6, 9, v0
	v_mov_b32_e32 v8, 0
	v_cmp_gt_i64_e32 vcc, s[36:37], v[7:8]
	v_mov_b32_e32 v1, 0
	v_lshlrev_b64 v[10:11], 2, v[7:8]
	v_mov_b32_e32 v2, 0
	v_mov_b32_e32 v3, -1
	s_and_saveexec_b64 s[0:1], vcc
	s_cbranch_execz .LBB95_5
; %bb.4:
	s_waitcnt lgkmcnt(0)
	v_mov_b32_e32 v2, s27
	v_add_co_u32_e32 v1, vcc, s26, v10
	v_addc_co_u32_e32 v2, vcc, v2, v11, vcc
	global_load_dword v3, v[1:2], off glc slc
	v_mov_b32_e32 v2, s29
	v_add_co_u32_e32 v1, vcc, s28, v10
	v_addc_co_u32_e32 v2, vcc, v2, v11, vcc
	global_load_dword v8, v[1:2], off glc slc
	v_mov_b32_e32 v4, s31
	s_waitcnt vmcnt(1)
	v_subrev_u32_e32 v1, s34, v3
	v_ashrrev_i32_e32 v2, 31, v1
	v_lshlrev_b64 v[1:2], 3, v[1:2]
	v_add_co_u32_e32 v1, vcc, s30, v1
	v_addc_co_u32_e32 v2, vcc, v4, v2, vcc
	global_load_dwordx2 v[1:2], v[1:2], off
	v_mov_b32_e32 v4, s25
	v_add_co_u32_e32 v3, vcc, s24, v10
	v_addc_co_u32_e32 v4, vcc, v4, v11, vcc
	global_load_dword v9, v[3:4], off glc slc
	s_waitcnt vmcnt(2)
	v_cvt_f64_f32_e32 v[3:4], v8
	s_waitcnt vmcnt(1)
	v_mul_f64 v[1:2], v[1:2], v[3:4]
	s_waitcnt vmcnt(0)
	v_subrev_u32_e32 v3, s34, v9
.LBB95_5:
	s_or_b64 exec, exec, s[0:1]
	v_lshlrev_b32_e32 v4, 2, v0
	v_or_b32_e32 v14, 0x800, v4
	v_lshlrev_b32_e32 v15, 3, v0
	v_cmp_eq_u32_e64 s[18:19], 0, v0
	v_cmp_ne_u32_e64 s[0:1], 0, v0
	v_add_u32_e32 v16, -4, v14
	ds_write_b32 v4, v3 offset:2048
	ds_write_b64 v15, v[1:2]
	s_waitcnt lgkmcnt(0)
	s_barrier
	s_and_saveexec_b64 s[2:3], s[0:1]
	s_cbranch_execz .LBB95_9
; %bb.6:
	ds_read_b32 v4, v16
	s_waitcnt lgkmcnt(0)
	v_cmp_eq_u32_e32 vcc, v3, v4
	s_and_saveexec_b64 s[6:7], vcc
	s_cbranch_execz .LBB95_8
; %bb.7:
	v_add_u32_e32 v4, -8, v15
	ds_read_b64 v[8:9], v4
	s_waitcnt lgkmcnt(0)
	v_add_f64 v[1:2], v[1:2], v[8:9]
.LBB95_8:
	s_or_b64 exec, exec, s[6:7]
.LBB95_9:
	s_or_b64 exec, exec, s[2:3]
	v_cmp_lt_u32_e64 s[2:3], 1, v0
	v_add_u32_e32 v17, -8, v14
	s_barrier
	ds_write_b64 v15, v[1:2]
	s_waitcnt lgkmcnt(0)
	s_barrier
	s_and_saveexec_b64 s[6:7], s[2:3]
	s_cbranch_execz .LBB95_13
; %bb.10:
	ds_read_b32 v4, v17
	s_waitcnt lgkmcnt(0)
	v_cmp_eq_u32_e32 vcc, v3, v4
	s_and_saveexec_b64 s[8:9], vcc
	s_cbranch_execz .LBB95_12
; %bb.11:
	v_add_u32_e32 v4, -16, v15
	ds_read_b64 v[8:9], v4
	s_waitcnt lgkmcnt(0)
	v_add_f64 v[1:2], v[1:2], v[8:9]
.LBB95_12:
	s_or_b64 exec, exec, s[8:9]
.LBB95_13:
	s_or_b64 exec, exec, s[6:7]
	v_cmp_lt_u32_e64 s[20:21], 3, v0
	v_add_u32_e32 v18, -16, v14
	s_barrier
	ds_write_b64 v15, v[1:2]
	s_waitcnt lgkmcnt(0)
	s_barrier
	s_and_saveexec_b64 s[6:7], s[20:21]
	s_cbranch_execz .LBB95_17
; %bb.14:
	ds_read_b32 v4, v18
	s_waitcnt lgkmcnt(0)
	v_cmp_eq_u32_e32 vcc, v3, v4
	s_and_saveexec_b64 s[8:9], vcc
	s_cbranch_execz .LBB95_16
; %bb.15:
	v_subrev_u32_e32 v4, 32, v15
	ds_read_b64 v[8:9], v4
	s_waitcnt lgkmcnt(0)
	v_add_f64 v[1:2], v[1:2], v[8:9]
.LBB95_16:
	s_or_b64 exec, exec, s[8:9]
.LBB95_17:
	s_or_b64 exec, exec, s[6:7]
	v_cmp_lt_u32_e64 s[6:7], 7, v0
	v_subrev_u32_e32 v19, 32, v14
	s_barrier
	ds_write_b64 v15, v[1:2]
	s_waitcnt lgkmcnt(0)
	s_barrier
	s_and_saveexec_b64 s[8:9], s[6:7]
	s_cbranch_execz .LBB95_21
; %bb.18:
	ds_read_b32 v4, v19
	s_waitcnt lgkmcnt(0)
	v_cmp_eq_u32_e32 vcc, v3, v4
	s_and_saveexec_b64 s[10:11], vcc
	s_cbranch_execz .LBB95_20
; %bb.19:
	v_subrev_u32_e32 v4, 64, v15
	ds_read_b64 v[8:9], v4
	s_waitcnt lgkmcnt(0)
	v_add_f64 v[1:2], v[1:2], v[8:9]
.LBB95_20:
	s_or_b64 exec, exec, s[10:11]
.LBB95_21:
	s_or_b64 exec, exec, s[8:9]
	v_cmp_lt_u32_e64 s[8:9], 15, v0
	v_subrev_u32_e32 v20, 64, v14
	s_barrier
	ds_write_b64 v15, v[1:2]
	s_waitcnt lgkmcnt(0)
	s_barrier
	s_and_saveexec_b64 s[10:11], s[8:9]
	s_cbranch_execz .LBB95_25
; %bb.22:
	ds_read_b32 v4, v20
	s_waitcnt lgkmcnt(0)
	v_cmp_eq_u32_e32 vcc, v3, v4
	s_and_saveexec_b64 s[12:13], vcc
	s_cbranch_execz .LBB95_24
; %bb.23:
	v_add_u32_e32 v4, 0xffffff80, v15
	ds_read_b64 v[8:9], v4
	s_waitcnt lgkmcnt(0)
	v_add_f64 v[1:2], v[1:2], v[8:9]
.LBB95_24:
	s_or_b64 exec, exec, s[12:13]
.LBB95_25:
	s_or_b64 exec, exec, s[10:11]
	v_cmp_lt_u32_e64 s[10:11], 31, v0
	s_barrier
	ds_write_b64 v15, v[1:2]
	s_waitcnt lgkmcnt(0)
	s_barrier
	s_and_saveexec_b64 s[12:13], s[10:11]
	s_cbranch_execz .LBB95_29
; %bb.26:
	v_add_u32_e32 v4, 0xffffff80, v14
	ds_read_b32 v4, v4
	s_waitcnt lgkmcnt(0)
	v_cmp_eq_u32_e32 vcc, v3, v4
	s_and_saveexec_b64 s[14:15], vcc
	s_cbranch_execz .LBB95_28
; %bb.27:
	v_add_u32_e32 v4, 0xffffff00, v15
	ds_read_b64 v[8:9], v4
	s_waitcnt lgkmcnt(0)
	v_add_f64 v[1:2], v[1:2], v[8:9]
.LBB95_28:
	s_or_b64 exec, exec, s[14:15]
.LBB95_29:
	s_or_b64 exec, exec, s[12:13]
	v_cmp_lt_u32_e64 s[12:13], 63, v0
	s_barrier
	ds_write_b64 v15, v[1:2]
	s_waitcnt lgkmcnt(0)
	s_barrier
	s_and_saveexec_b64 s[14:15], s[12:13]
	s_cbranch_execz .LBB95_33
; %bb.30:
	v_add_u32_e32 v4, 0xffffff00, v14
	ds_read_b32 v4, v4
	s_waitcnt lgkmcnt(0)
	v_cmp_eq_u32_e32 vcc, v3, v4
	s_and_saveexec_b64 s[16:17], vcc
	s_cbranch_execz .LBB95_32
; %bb.31:
	v_add_u32_e32 v4, 0xfffffe00, v15
	ds_read_b64 v[8:9], v4
	s_waitcnt lgkmcnt(0)
	v_add_f64 v[1:2], v[1:2], v[8:9]
.LBB95_32:
	s_or_b64 exec, exec, s[16:17]
.LBB95_33:
	s_or_b64 exec, exec, s[14:15]
	s_load_dwordx2 s[22:23], s[4:5], 0x30
	s_movk_i32 s4, 0x7f
	v_cmp_lt_u32_e64 s[14:15], s4, v0
	s_waitcnt lgkmcnt(0)
	s_barrier
	ds_write_b64 v15, v[1:2]
	s_waitcnt lgkmcnt(0)
	s_barrier
	s_and_saveexec_b64 s[4:5], s[14:15]
	s_cbranch_execz .LBB95_37
; %bb.34:
	v_add_u32_e32 v4, 0xfffffe00, v14
	ds_read_b32 v4, v4
	s_waitcnt lgkmcnt(0)
	v_cmp_eq_u32_e32 vcc, v3, v4
	s_and_saveexec_b64 s[16:17], vcc
	s_cbranch_execz .LBB95_36
; %bb.35:
	v_add_u32_e32 v4, 0xfffffc00, v15
	ds_read_b64 v[8:9], v4
	s_waitcnt lgkmcnt(0)
	v_add_f64 v[1:2], v[1:2], v[8:9]
.LBB95_36:
	s_or_b64 exec, exec, s[16:17]
.LBB95_37:
	s_or_b64 exec, exec, s[4:5]
	s_movk_i32 s4, 0xff
	v_cmp_gt_u32_e64 s[16:17], s4, v0
	s_barrier
	ds_write_b64 v15, v[1:2]
	s_waitcnt lgkmcnt(0)
	s_barrier
	s_and_saveexec_b64 s[38:39], s[16:17]
	s_cbranch_execz .LBB95_41
; %bb.38:
	ds_read_b32 v4, v14 offset:4
	v_cmp_lt_i32_e64 s[4:5], -1, v3
	s_waitcnt lgkmcnt(0)
	v_cmp_ne_u32_e32 vcc, v3, v4
	s_and_b64 s[4:5], s[4:5], vcc
	s_and_b64 exec, exec, s[4:5]
	s_cbranch_execz .LBB95_41
; %bb.39:
	v_mov_b32_e32 v4, 0
	v_lshlrev_b64 v[3:4], 3, v[3:4]
	v_mov_b32_e32 v9, s23
	v_add_co_u32_e32 v8, vcc, s22, v3
	v_addc_co_u32_e32 v9, vcc, v9, v4, vcc
	global_load_dwordx2 v[3:4], v[8:9], off
	v_mul_f64 v[12:13], v[5:6], v[1:2]
	s_mov_b64 s[4:5], 0
.LBB95_40:                              ; =>This Inner Loop Header: Depth=1
	s_waitcnt vmcnt(0)
	v_add_f64 v[1:2], v[3:4], v[12:13]
	global_atomic_cmpswap_x2 v[1:2], v[8:9], v[1:4], off glc
	s_waitcnt vmcnt(0)
	v_cmp_eq_u64_e32 vcc, v[1:2], v[3:4]
	v_mov_b32_e32 v4, v2
	s_or_b64 s[4:5], vcc, s[4:5]
	v_mov_b32_e32 v3, v1
	s_andn2_b64 exec, exec, s[4:5]
	s_cbranch_execnz .LBB95_40
.LBB95_41:
	s_or_b64 exec, exec, s[38:39]
	v_add_co_u32_e32 v1, vcc, 0x100, v7
	v_addc_co_u32_e64 v2, s[4:5], 0, 0, vcc
	v_cmp_gt_i64_e32 vcc, s[36:37], v[1:2]
	v_mov_b32_e32 v7, 0
	v_mov_b32_e32 v8, 0
	v_mov_b32_e32 v9, -1
	s_and_saveexec_b64 s[4:5], vcc
	s_cbranch_execz .LBB95_43
; %bb.42:
	v_mov_b32_e32 v2, s27
	v_add_co_u32_e32 v1, vcc, s26, v10
	v_addc_co_u32_e32 v2, vcc, v2, v11, vcc
	global_load_dword v3, v[1:2], off offset:1024 glc slc
	v_mov_b32_e32 v2, s29
	v_add_co_u32_e32 v1, vcc, s28, v10
	v_addc_co_u32_e32 v2, vcc, v2, v11, vcc
	global_load_dword v7, v[1:2], off offset:1024 glc slc
	v_mov_b32_e32 v4, s31
	s_waitcnt vmcnt(1)
	v_subrev_u32_e32 v1, s34, v3
	v_ashrrev_i32_e32 v2, 31, v1
	v_lshlrev_b64 v[1:2], 3, v[1:2]
	v_add_co_u32_e32 v1, vcc, s30, v1
	v_addc_co_u32_e32 v2, vcc, v4, v2, vcc
	global_load_dwordx2 v[1:2], v[1:2], off
	v_mov_b32_e32 v4, s25
	v_add_co_u32_e32 v3, vcc, s24, v10
	v_addc_co_u32_e32 v4, vcc, v4, v11, vcc
	global_load_dword v9, v[3:4], off offset:1024 glc slc
	s_waitcnt vmcnt(2)
	v_cvt_f64_f32_e32 v[3:4], v7
	s_waitcnt vmcnt(1)
	v_mul_f64 v[7:8], v[1:2], v[3:4]
	s_waitcnt vmcnt(0)
	v_subrev_u32_e32 v9, s34, v9
.LBB95_43:
	s_or_b64 exec, exec, s[4:5]
	s_and_saveexec_b64 s[4:5], s[18:19]
	s_cbranch_execz .LBB95_56
; %bb.44:
	v_mov_b32_e32 v1, 0
	ds_read_b32 v1, v1 offset:3068
	s_waitcnt lgkmcnt(0)
	v_readfirstlane_b32 s24, v1
	v_cmp_ne_u32_e32 vcc, v9, v1
	s_and_saveexec_b64 s[18:19], vcc
	s_xor_b64 s[18:19], exec, s[18:19]
	s_cbranch_execz .LBB95_53
; %bb.45:
	s_cmp_lt_i32 s24, 0
	s_cbranch_scc1 .LBB95_53
; %bb.46:
	v_mov_b32_e32 v1, 0
	ds_read_b64 v[1:2], v1 offset:2040
	v_mov_b32_e32 v10, 0
	s_mov_b64 s[26:27], exec
	v_bfrev_b32_e32 v11, 1
	s_waitcnt lgkmcnt(0)
	v_mul_f64 v[1:2], v[5:6], v[1:2]
.LBB95_47:                              ; =>This Inner Loop Header: Depth=1
	s_ff1_i32_b64 s25, s[26:27]
	v_readlane_b32 s29, v2, s25
	v_readlane_b32 s28, v1, s25
	v_add_f64 v[10:11], v[10:11], s[28:29]
	s_lshl_b64 s[28:29], 1, s25
	s_andn2_b64 s[26:27], s[26:27], s[28:29]
	s_cmp_lg_u64 s[26:27], 0
	s_cbranch_scc1 .LBB95_47
; %bb.48:
	v_mbcnt_lo_u32_b32 v1, exec_lo, 0
	v_mbcnt_hi_u32_b32 v1, exec_hi, v1
	s_mov_b32 s25, 0
	v_cmp_eq_u32_e32 vcc, 0, v1
	s_and_saveexec_b64 s[26:27], vcc
	s_xor_b64 s[26:27], exec, s[26:27]
	s_cbranch_execz .LBB95_52
; %bb.49:
	s_lshl_b64 s[24:25], s[24:25], 3
	s_add_u32 s24, s22, s24
	s_addc_u32 s25, s23, s25
	v_mov_b32_e32 v12, 0
	global_load_dwordx2 v[3:4], v12, s[24:25]
	s_mov_b64 s[28:29], 0
.LBB95_50:                              ; =>This Inner Loop Header: Depth=1
	s_waitcnt vmcnt(0)
	v_add_f64 v[1:2], v[3:4], v[10:11]
	global_atomic_cmpswap_x2 v[1:2], v12, v[1:4], s[24:25] glc
	s_waitcnt vmcnt(0)
	v_cmp_eq_u64_e32 vcc, v[1:2], v[3:4]
	v_mov_b32_e32 v4, v2
	s_or_b64 s[28:29], vcc, s[28:29]
	v_mov_b32_e32 v3, v1
	s_andn2_b64 exec, exec, s[28:29]
	s_cbranch_execnz .LBB95_50
; %bb.51:
	s_or_b64 exec, exec, s[28:29]
.LBB95_52:
	s_or_b64 exec, exec, s[26:27]
.LBB95_53:
	s_andn2_saveexec_b64 s[18:19], s[18:19]
	s_cbranch_execz .LBB95_55
; %bb.54:
	v_mov_b32_e32 v1, 0
	ds_read_b64 v[1:2], v1 offset:2040
	s_waitcnt lgkmcnt(0)
	v_add_f64 v[7:8], v[7:8], v[1:2]
.LBB95_55:
	s_or_b64 exec, exec, s[18:19]
.LBB95_56:
	s_or_b64 exec, exec, s[4:5]
	s_barrier
	ds_write_b32 v14, v9
	ds_write_b64 v15, v[7:8]
	s_waitcnt lgkmcnt(0)
	s_barrier
	s_and_saveexec_b64 s[4:5], s[0:1]
	s_cbranch_execz .LBB95_60
; %bb.57:
	ds_read_b32 v1, v16
	s_waitcnt lgkmcnt(0)
	v_cmp_eq_u32_e32 vcc, v9, v1
	s_and_saveexec_b64 s[0:1], vcc
	s_cbranch_execz .LBB95_59
; %bb.58:
	v_add_u32_e32 v1, -8, v15
	ds_read_b64 v[1:2], v1
	s_waitcnt lgkmcnt(0)
	v_add_f64 v[7:8], v[7:8], v[1:2]
.LBB95_59:
	s_or_b64 exec, exec, s[0:1]
.LBB95_60:
	s_or_b64 exec, exec, s[4:5]
	s_barrier
	ds_write_b64 v15, v[7:8]
	s_waitcnt lgkmcnt(0)
	s_barrier
	s_and_saveexec_b64 s[0:1], s[2:3]
	s_cbranch_execz .LBB95_64
; %bb.61:
	ds_read_b32 v1, v17
	s_waitcnt lgkmcnt(0)
	v_cmp_eq_u32_e32 vcc, v9, v1
	s_and_saveexec_b64 s[2:3], vcc
	s_cbranch_execz .LBB95_63
; %bb.62:
	v_add_u32_e32 v1, -16, v15
	ds_read_b64 v[1:2], v1
	s_waitcnt lgkmcnt(0)
	v_add_f64 v[7:8], v[7:8], v[1:2]
.LBB95_63:
	s_or_b64 exec, exec, s[2:3]
.LBB95_64:
	s_or_b64 exec, exec, s[0:1]
	s_barrier
	ds_write_b64 v15, v[7:8]
	s_waitcnt lgkmcnt(0)
	s_barrier
	s_and_saveexec_b64 s[0:1], s[20:21]
	s_cbranch_execz .LBB95_68
; %bb.65:
	ds_read_b32 v1, v18
	s_waitcnt lgkmcnt(0)
	v_cmp_eq_u32_e32 vcc, v9, v1
	s_and_saveexec_b64 s[2:3], vcc
	s_cbranch_execz .LBB95_67
; %bb.66:
	v_subrev_u32_e32 v1, 32, v15
	ds_read_b64 v[1:2], v1
	s_waitcnt lgkmcnt(0)
	v_add_f64 v[7:8], v[7:8], v[1:2]
.LBB95_67:
	s_or_b64 exec, exec, s[2:3]
.LBB95_68:
	s_or_b64 exec, exec, s[0:1]
	s_barrier
	ds_write_b64 v15, v[7:8]
	s_waitcnt lgkmcnt(0)
	s_barrier
	s_and_saveexec_b64 s[0:1], s[6:7]
	s_cbranch_execz .LBB95_72
; %bb.69:
	ds_read_b32 v1, v19
	s_waitcnt lgkmcnt(0)
	v_cmp_eq_u32_e32 vcc, v9, v1
	s_and_saveexec_b64 s[2:3], vcc
	s_cbranch_execz .LBB95_71
; %bb.70:
	v_subrev_u32_e32 v1, 64, v15
	ds_read_b64 v[1:2], v1
	s_waitcnt lgkmcnt(0)
	v_add_f64 v[7:8], v[7:8], v[1:2]
.LBB95_71:
	s_or_b64 exec, exec, s[2:3]
.LBB95_72:
	s_or_b64 exec, exec, s[0:1]
	s_barrier
	ds_write_b64 v15, v[7:8]
	s_waitcnt lgkmcnt(0)
	s_barrier
	s_and_saveexec_b64 s[0:1], s[8:9]
	s_cbranch_execz .LBB95_76
; %bb.73:
	ds_read_b32 v1, v20
	s_waitcnt lgkmcnt(0)
	v_cmp_eq_u32_e32 vcc, v9, v1
	s_and_saveexec_b64 s[2:3], vcc
	s_cbranch_execz .LBB95_75
; %bb.74:
	v_add_u32_e32 v1, 0xffffff80, v15
	ds_read_b64 v[1:2], v1
	s_waitcnt lgkmcnt(0)
	v_add_f64 v[7:8], v[7:8], v[1:2]
.LBB95_75:
	s_or_b64 exec, exec, s[2:3]
.LBB95_76:
	s_or_b64 exec, exec, s[0:1]
	s_barrier
	ds_write_b64 v15, v[7:8]
	s_waitcnt lgkmcnt(0)
	s_barrier
	s_and_saveexec_b64 s[0:1], s[10:11]
	s_cbranch_execz .LBB95_80
; %bb.77:
	v_add_u32_e32 v1, 0xffffff80, v14
	ds_read_b32 v1, v1
	s_waitcnt lgkmcnt(0)
	v_cmp_eq_u32_e32 vcc, v9, v1
	s_and_saveexec_b64 s[2:3], vcc
	s_cbranch_execz .LBB95_79
; %bb.78:
	v_add_u32_e32 v1, 0xffffff00, v15
	ds_read_b64 v[1:2], v1
	s_waitcnt lgkmcnt(0)
	v_add_f64 v[7:8], v[7:8], v[1:2]
.LBB95_79:
	s_or_b64 exec, exec, s[2:3]
.LBB95_80:
	s_or_b64 exec, exec, s[0:1]
	s_barrier
	ds_write_b64 v15, v[7:8]
	s_waitcnt lgkmcnt(0)
	s_barrier
	s_and_saveexec_b64 s[0:1], s[12:13]
	s_cbranch_execz .LBB95_84
; %bb.81:
	v_add_u32_e32 v1, 0xffffff00, v14
	ds_read_b32 v1, v1
	s_waitcnt lgkmcnt(0)
	v_cmp_eq_u32_e32 vcc, v9, v1
	s_and_saveexec_b64 s[2:3], vcc
	s_cbranch_execz .LBB95_83
; %bb.82:
	v_add_u32_e32 v1, 0xfffffe00, v15
	ds_read_b64 v[1:2], v1
	s_waitcnt lgkmcnt(0)
	v_add_f64 v[7:8], v[7:8], v[1:2]
.LBB95_83:
	s_or_b64 exec, exec, s[2:3]
.LBB95_84:
	;; [unrolled: 22-line block ×3, first 2 shown]
	s_or_b64 exec, exec, s[0:1]
	s_barrier
	ds_write_b64 v15, v[7:8]
	s_waitcnt lgkmcnt(0)
	s_barrier
	s_and_saveexec_b64 s[2:3], s[16:17]
	s_cbranch_execz .LBB95_92
; %bb.89:
	ds_read_b32 v1, v14 offset:4
	v_cmp_lt_i32_e64 s[0:1], -1, v9
	s_waitcnt lgkmcnt(0)
	v_cmp_ne_u32_e32 vcc, v9, v1
	s_and_b64 s[0:1], s[0:1], vcc
	s_and_b64 exec, exec, s[0:1]
	s_cbranch_execz .LBB95_92
; %bb.90:
	v_mov_b32_e32 v10, 0
	v_lshlrev_b64 v[1:2], 3, v[9:10]
	v_mov_b32_e32 v3, s23
	v_add_co_u32_e32 v10, vcc, s22, v1
	v_addc_co_u32_e32 v11, vcc, v3, v2, vcc
	global_load_dwordx2 v[3:4], v[10:11], off
	v_mul_f64 v[12:13], v[5:6], v[7:8]
	s_mov_b64 s[0:1], 0
.LBB95_91:                              ; =>This Inner Loop Header: Depth=1
	s_waitcnt vmcnt(0)
	v_add_f64 v[1:2], v[3:4], v[12:13]
	global_atomic_cmpswap_x2 v[1:2], v[10:11], v[1:4], off glc
	s_waitcnt vmcnt(0)
	v_cmp_eq_u64_e32 vcc, v[1:2], v[3:4]
	v_mov_b32_e32 v4, v2
	s_or_b64 s[0:1], vcc, s[0:1]
	v_mov_b32_e32 v3, v1
	s_andn2_b64 exec, exec, s[0:1]
	s_cbranch_execnz .LBB95_91
.LBB95_92:
	s_or_b64 exec, exec, s[2:3]
	s_movk_i32 s0, 0xff
	v_cmp_eq_u32_e32 vcc, s0, v0
	v_cmp_lt_i32_e64 s[0:1], -1, v9
	s_and_b64 s[0:1], vcc, s[0:1]
	s_and_b64 exec, exec, s[0:1]
	s_cbranch_execz .LBB95_95
; %bb.93:
	v_mov_b32_e32 v10, 0
	v_lshlrev_b64 v[0:1], 3, v[9:10]
	v_mov_b32_e32 v2, s23
	v_add_co_u32_e32 v9, vcc, s22, v0
	v_addc_co_u32_e32 v10, vcc, v2, v1, vcc
	global_load_dwordx2 v[2:3], v[9:10], off
	v_mul_f64 v[4:5], v[5:6], v[7:8]
	s_mov_b64 s[0:1], 0
.LBB95_94:                              ; =>This Inner Loop Header: Depth=1
	s_waitcnt vmcnt(0)
	v_add_f64 v[0:1], v[2:3], v[4:5]
	global_atomic_cmpswap_x2 v[0:1], v[9:10], v[0:3], off glc
	s_waitcnt vmcnt(0)
	v_cmp_eq_u64_e32 vcc, v[0:1], v[2:3]
	v_mov_b32_e32 v3, v1
	s_or_b64 s[0:1], vcc, s[0:1]
	v_mov_b32_e32 v2, v0
	s_andn2_b64 exec, exec, s[0:1]
	s_cbranch_execnz .LBB95_94
.LBB95_95:
	s_endpgm
	.section	.rodata,"a",@progbits
	.p2align	6, 0x0
	.amdhsa_kernel _ZN9rocsparseL19coomvn_atomic_loopsILj256ELj2EifdddEEvlNS_24const_host_device_scalarIT5_EEPKT1_S6_PKT2_PKT3_PT4_21rocsparse_index_base_b
		.amdhsa_group_segment_fixed_size 3072
		.amdhsa_private_segment_fixed_size 0
		.amdhsa_kernarg_size 64
		.amdhsa_user_sgpr_count 6
		.amdhsa_user_sgpr_private_segment_buffer 1
		.amdhsa_user_sgpr_dispatch_ptr 0
		.amdhsa_user_sgpr_queue_ptr 0
		.amdhsa_user_sgpr_kernarg_segment_ptr 1
		.amdhsa_user_sgpr_dispatch_id 0
		.amdhsa_user_sgpr_flat_scratch_init 0
		.amdhsa_user_sgpr_private_segment_size 0
		.amdhsa_uses_dynamic_stack 0
		.amdhsa_system_sgpr_private_segment_wavefront_offset 0
		.amdhsa_system_sgpr_workgroup_id_x 1
		.amdhsa_system_sgpr_workgroup_id_y 0
		.amdhsa_system_sgpr_workgroup_id_z 0
		.amdhsa_system_sgpr_workgroup_info 0
		.amdhsa_system_vgpr_workitem_id 0
		.amdhsa_next_free_vgpr 21
		.amdhsa_next_free_sgpr 40
		.amdhsa_reserve_vcc 1
		.amdhsa_reserve_flat_scratch 0
		.amdhsa_float_round_mode_32 0
		.amdhsa_float_round_mode_16_64 0
		.amdhsa_float_denorm_mode_32 3
		.amdhsa_float_denorm_mode_16_64 3
		.amdhsa_dx10_clamp 1
		.amdhsa_ieee_mode 1
		.amdhsa_fp16_overflow 0
		.amdhsa_exception_fp_ieee_invalid_op 0
		.amdhsa_exception_fp_denorm_src 0
		.amdhsa_exception_fp_ieee_div_zero 0
		.amdhsa_exception_fp_ieee_overflow 0
		.amdhsa_exception_fp_ieee_underflow 0
		.amdhsa_exception_fp_ieee_inexact 0
		.amdhsa_exception_int_div_zero 0
	.end_amdhsa_kernel
	.section	.text._ZN9rocsparseL19coomvn_atomic_loopsILj256ELj2EifdddEEvlNS_24const_host_device_scalarIT5_EEPKT1_S6_PKT2_PKT3_PT4_21rocsparse_index_base_b,"axG",@progbits,_ZN9rocsparseL19coomvn_atomic_loopsILj256ELj2EifdddEEvlNS_24const_host_device_scalarIT5_EEPKT1_S6_PKT2_PKT3_PT4_21rocsparse_index_base_b,comdat
.Lfunc_end95:
	.size	_ZN9rocsparseL19coomvn_atomic_loopsILj256ELj2EifdddEEvlNS_24const_host_device_scalarIT5_EEPKT1_S6_PKT2_PKT3_PT4_21rocsparse_index_base_b, .Lfunc_end95-_ZN9rocsparseL19coomvn_atomic_loopsILj256ELj2EifdddEEvlNS_24const_host_device_scalarIT5_EEPKT1_S6_PKT2_PKT3_PT4_21rocsparse_index_base_b
                                        ; -- End function
	.set _ZN9rocsparseL19coomvn_atomic_loopsILj256ELj2EifdddEEvlNS_24const_host_device_scalarIT5_EEPKT1_S6_PKT2_PKT3_PT4_21rocsparse_index_base_b.num_vgpr, 21
	.set _ZN9rocsparseL19coomvn_atomic_loopsILj256ELj2EifdddEEvlNS_24const_host_device_scalarIT5_EEPKT1_S6_PKT2_PKT3_PT4_21rocsparse_index_base_b.num_agpr, 0
	.set _ZN9rocsparseL19coomvn_atomic_loopsILj256ELj2EifdddEEvlNS_24const_host_device_scalarIT5_EEPKT1_S6_PKT2_PKT3_PT4_21rocsparse_index_base_b.numbered_sgpr, 40
	.set _ZN9rocsparseL19coomvn_atomic_loopsILj256ELj2EifdddEEvlNS_24const_host_device_scalarIT5_EEPKT1_S6_PKT2_PKT3_PT4_21rocsparse_index_base_b.num_named_barrier, 0
	.set _ZN9rocsparseL19coomvn_atomic_loopsILj256ELj2EifdddEEvlNS_24const_host_device_scalarIT5_EEPKT1_S6_PKT2_PKT3_PT4_21rocsparse_index_base_b.private_seg_size, 0
	.set _ZN9rocsparseL19coomvn_atomic_loopsILj256ELj2EifdddEEvlNS_24const_host_device_scalarIT5_EEPKT1_S6_PKT2_PKT3_PT4_21rocsparse_index_base_b.uses_vcc, 1
	.set _ZN9rocsparseL19coomvn_atomic_loopsILj256ELj2EifdddEEvlNS_24const_host_device_scalarIT5_EEPKT1_S6_PKT2_PKT3_PT4_21rocsparse_index_base_b.uses_flat_scratch, 0
	.set _ZN9rocsparseL19coomvn_atomic_loopsILj256ELj2EifdddEEvlNS_24const_host_device_scalarIT5_EEPKT1_S6_PKT2_PKT3_PT4_21rocsparse_index_base_b.has_dyn_sized_stack, 0
	.set _ZN9rocsparseL19coomvn_atomic_loopsILj256ELj2EifdddEEvlNS_24const_host_device_scalarIT5_EEPKT1_S6_PKT2_PKT3_PT4_21rocsparse_index_base_b.has_recursion, 0
	.set _ZN9rocsparseL19coomvn_atomic_loopsILj256ELj2EifdddEEvlNS_24const_host_device_scalarIT5_EEPKT1_S6_PKT2_PKT3_PT4_21rocsparse_index_base_b.has_indirect_call, 0
	.section	.AMDGPU.csdata,"",@progbits
; Kernel info:
; codeLenInByte = 2744
; TotalNumSgprs: 44
; NumVgprs: 21
; ScratchSize: 0
; MemoryBound: 0
; FloatMode: 240
; IeeeMode: 1
; LDSByteSize: 3072 bytes/workgroup (compile time only)
; SGPRBlocks: 5
; VGPRBlocks: 5
; NumSGPRsForWavesPerEU: 44
; NumVGPRsForWavesPerEU: 21
; Occupancy: 10
; WaveLimiterHint : 1
; COMPUTE_PGM_RSRC2:SCRATCH_EN: 0
; COMPUTE_PGM_RSRC2:USER_SGPR: 6
; COMPUTE_PGM_RSRC2:TRAP_HANDLER: 0
; COMPUTE_PGM_RSRC2:TGID_X_EN: 1
; COMPUTE_PGM_RSRC2:TGID_Y_EN: 0
; COMPUTE_PGM_RSRC2:TGID_Z_EN: 0
; COMPUTE_PGM_RSRC2:TIDIG_COMP_CNT: 0
	.section	.text._ZN9rocsparseL22coomvn_segmented_loopsILj256ElfdddEEvlT0_NS_24const_host_device_scalarIT4_EEPKS1_S6_PKT1_PKT2_PT3_PS1_PS3_21rocsparse_index_base_b,"axG",@progbits,_ZN9rocsparseL22coomvn_segmented_loopsILj256ElfdddEEvlT0_NS_24const_host_device_scalarIT4_EEPKS1_S6_PKT1_PKT2_PT3_PS1_PS3_21rocsparse_index_base_b,comdat
	.globl	_ZN9rocsparseL22coomvn_segmented_loopsILj256ElfdddEEvlT0_NS_24const_host_device_scalarIT4_EEPKS1_S6_PKT1_PKT2_PT3_PS1_PS3_21rocsparse_index_base_b ; -- Begin function _ZN9rocsparseL22coomvn_segmented_loopsILj256ElfdddEEvlT0_NS_24const_host_device_scalarIT4_EEPKS1_S6_PKT1_PKT2_PT3_PS1_PS3_21rocsparse_index_base_b
	.p2align	8
	.type	_ZN9rocsparseL22coomvn_segmented_loopsILj256ElfdddEEvlT0_NS_24const_host_device_scalarIT4_EEPKS1_S6_PKT1_PKT2_PT3_PS1_PS3_21rocsparse_index_base_b,@function
_ZN9rocsparseL22coomvn_segmented_loopsILj256ElfdddEEvlT0_NS_24const_host_device_scalarIT4_EEPKS1_S6_PKT1_PKT2_PT3_PS1_PS3_21rocsparse_index_base_b: ; @_ZN9rocsparseL22coomvn_segmented_loopsILj256ElfdddEEvlT0_NS_24const_host_device_scalarIT4_EEPKS1_S6_PKT1_PKT2_PT3_PS1_PS3_21rocsparse_index_base_b
; %bb.0:
	s_load_dwordx2 s[34:35], s[4:5], 0x50
	s_load_dwordx2 s[0:1], s[4:5], 0x10
	s_waitcnt lgkmcnt(0)
	s_bitcmp1_b32 s35, 0
	s_cselect_b64 s[2:3], -1, 0
	v_mov_b32_e32 v2, s1
	s_and_b64 vcc, exec, s[2:3]
	v_mov_b32_e32 v1, s0
	s_cbranch_vccnz .LBB96_2
; %bb.1:
	v_mov_b32_e32 v2, s1
	v_mov_b32_e32 v1, s0
	flat_load_dwordx2 v[1:2], v[1:2]
.LBB96_2:
	s_waitcnt vmcnt(0) lgkmcnt(0)
	v_cmp_neq_f64_e32 vcc, 0, v[1:2]
	s_and_saveexec_b64 s[0:1], vcc
	s_cbranch_execz .LBB96_89
; %bb.3:
	s_load_dwordx4 s[28:31], s[4:5], 0x0
	s_load_dwordx8 s[36:43], s[4:5], 0x18
	v_mov_b32_e32 v5, 0
	v_mov_b32_e32 v3, -1
	v_mov_b32_e32 v6, 0
	s_waitcnt lgkmcnt(0)
	s_mul_i32 s1, s6, s31
	s_mul_hi_u32 s2, s6, s30
	s_mul_i32 s0, s6, s30
	s_add_i32 s1, s2, s1
	s_lshl_b64 s[0:1], s[0:1], 8
	v_or_b32_e32 v9, s0, v0
	v_mov_b32_e32 v10, s1
	v_cmp_gt_i64_e32 vcc, s[28:29], v[9:10]
	v_mov_b32_e32 v4, -1
	s_mov_b32 s7, 0
	s_and_saveexec_b64 s[0:1], vcc
	s_cbranch_execz .LBB96_5
; %bb.4:
	v_lshlrev_b64 v[3:4], 3, v[9:10]
	v_mov_b32_e32 v6, s39
	v_add_co_u32_e32 v5, vcc, s38, v3
	v_addc_co_u32_e32 v6, vcc, v6, v4, vcc
	global_load_dwordx2 v[5:6], v[5:6], off glc slc
	v_lshlrev_b64 v[7:8], 2, v[9:10]
	v_mov_b32_e32 v12, s41
	v_add_co_u32_e32 v7, vcc, s40, v7
	v_addc_co_u32_e32 v8, vcc, v12, v8, vcc
	v_mov_b32_e32 v13, s43
	s_ashr_i32 s35, s34, 31
	global_load_dword v7, v[7:8], off glc slc
	s_lshl_b64 s[2:3], s[34:35], 3
	v_mov_b32_e32 v12, s3
	v_mov_b32_e32 v11, s37
	s_waitcnt vmcnt(1)
	v_lshlrev_b64 v[5:6], 3, v[5:6]
	v_add_co_u32_e32 v5, vcc, s42, v5
	v_addc_co_u32_e32 v6, vcc, v13, v6, vcc
	v_subrev_co_u32_e32 v5, vcc, s2, v5
	v_subb_co_u32_e32 v6, vcc, v6, v12, vcc
	global_load_dwordx2 v[5:6], v[5:6], off
	v_add_co_u32_e32 v3, vcc, s36, v3
	v_addc_co_u32_e32 v4, vcc, v11, v4, vcc
	global_load_dwordx2 v[3:4], v[3:4], off glc slc
	s_waitcnt vmcnt(2)
	v_cvt_f64_f32_e32 v[7:8], v7
	s_waitcnt vmcnt(1)
	v_mul_f64 v[5:6], v[5:6], v[7:8]
	s_waitcnt vmcnt(0)
	v_subrev_co_u32_e32 v3, vcc, s34, v3
	v_subbrev_co_u32_e32 v4, vcc, 0, v4, vcc
.LBB96_5:
	s_or_b64 exec, exec, s[0:1]
	v_lshlrev_b32_e32 v17, 3, v0
	v_or_b32_e32 v18, 0x800, v17
	v_cmp_eq_u32_e64 s[0:1], 0, v0
	v_cmp_ne_u32_e64 s[2:3], 0, v0
	v_add_u32_e32 v19, -8, v17
	ds_write2st64_b64 v17, v[3:4], v[5:6] offset1:4
	s_waitcnt lgkmcnt(0)
	s_barrier
	s_and_saveexec_b64 s[8:9], s[2:3]
	s_cbranch_execz .LBB96_9
; %bb.6:
	ds_read_b64 v[7:8], v19
	s_waitcnt lgkmcnt(0)
	v_cmp_eq_u64_e32 vcc, v[3:4], v[7:8]
	s_and_saveexec_b64 s[10:11], vcc
	s_cbranch_execz .LBB96_8
; %bb.7:
	v_add_u32_e32 v7, -8, v18
	ds_read_b64 v[7:8], v7
	s_waitcnt lgkmcnt(0)
	v_add_f64 v[5:6], v[5:6], v[7:8]
.LBB96_8:
	s_or_b64 exec, exec, s[10:11]
.LBB96_9:
	s_or_b64 exec, exec, s[8:9]
	v_cmp_lt_u32_e64 s[22:23], 1, v0
	v_add_u32_e32 v20, -16, v17
	s_barrier
	ds_write_b64 v18, v[5:6]
	s_waitcnt lgkmcnt(0)
	s_barrier
	s_and_saveexec_b64 s[8:9], s[22:23]
	s_cbranch_execz .LBB96_13
; %bb.10:
	ds_read_b64 v[7:8], v20
	s_waitcnt lgkmcnt(0)
	v_cmp_eq_u64_e32 vcc, v[3:4], v[7:8]
	s_and_saveexec_b64 s[10:11], vcc
	s_cbranch_execz .LBB96_12
; %bb.11:
	v_add_u32_e32 v7, -16, v18
	ds_read_b64 v[7:8], v7
	s_waitcnt lgkmcnt(0)
	v_add_f64 v[5:6], v[5:6], v[7:8]
.LBB96_12:
	s_or_b64 exec, exec, s[10:11]
.LBB96_13:
	s_or_b64 exec, exec, s[8:9]
	v_cmp_lt_u32_e64 s[8:9], 3, v0
	v_subrev_u32_e32 v21, 32, v17
	s_barrier
	ds_write_b64 v18, v[5:6]
	s_waitcnt lgkmcnt(0)
	s_barrier
	s_and_saveexec_b64 s[10:11], s[8:9]
	s_cbranch_execz .LBB96_17
; %bb.14:
	ds_read_b64 v[7:8], v21
	s_waitcnt lgkmcnt(0)
	v_cmp_eq_u64_e32 vcc, v[3:4], v[7:8]
	s_and_saveexec_b64 s[12:13], vcc
	s_cbranch_execz .LBB96_16
; %bb.15:
	v_subrev_u32_e32 v7, 32, v18
	ds_read_b64 v[7:8], v7
	s_waitcnt lgkmcnt(0)
	v_add_f64 v[5:6], v[5:6], v[7:8]
.LBB96_16:
	s_or_b64 exec, exec, s[12:13]
.LBB96_17:
	s_or_b64 exec, exec, s[10:11]
	v_cmp_lt_u32_e64 s[10:11], 7, v0
	v_subrev_u32_e32 v22, 64, v17
	s_barrier
	ds_write_b64 v18, v[5:6]
	s_waitcnt lgkmcnt(0)
	s_barrier
	s_and_saveexec_b64 s[12:13], s[10:11]
	s_cbranch_execz .LBB96_21
; %bb.18:
	ds_read_b64 v[7:8], v22
	s_waitcnt lgkmcnt(0)
	v_cmp_eq_u64_e32 vcc, v[3:4], v[7:8]
	s_and_saveexec_b64 s[14:15], vcc
	s_cbranch_execz .LBB96_20
; %bb.19:
	v_subrev_u32_e32 v7, 64, v18
	ds_read_b64 v[7:8], v7
	s_waitcnt lgkmcnt(0)
	v_add_f64 v[5:6], v[5:6], v[7:8]
.LBB96_20:
	s_or_b64 exec, exec, s[14:15]
.LBB96_21:
	s_or_b64 exec, exec, s[12:13]
	v_cmp_lt_u32_e64 s[12:13], 15, v0
	s_barrier
	ds_write_b64 v18, v[5:6]
	s_waitcnt lgkmcnt(0)
	s_barrier
	s_and_saveexec_b64 s[14:15], s[12:13]
	s_cbranch_execz .LBB96_25
; %bb.22:
	v_add_u32_e32 v7, 0xffffff80, v17
	ds_read_b64 v[7:8], v7
	s_waitcnt lgkmcnt(0)
	v_cmp_eq_u64_e32 vcc, v[3:4], v[7:8]
	s_and_saveexec_b64 s[16:17], vcc
	s_cbranch_execz .LBB96_24
; %bb.23:
	v_add_u32_e32 v7, 0xffffff80, v18
	ds_read_b64 v[7:8], v7
	s_waitcnt lgkmcnt(0)
	v_add_f64 v[5:6], v[5:6], v[7:8]
.LBB96_24:
	s_or_b64 exec, exec, s[16:17]
.LBB96_25:
	s_or_b64 exec, exec, s[14:15]
	v_cmp_lt_u32_e64 s[14:15], 31, v0
	s_barrier
	ds_write_b64 v18, v[5:6]
	s_waitcnt lgkmcnt(0)
	s_barrier
	s_and_saveexec_b64 s[16:17], s[14:15]
	s_cbranch_execz .LBB96_29
; %bb.26:
	v_add_u32_e32 v7, 0xffffff00, v17
	ds_read_b64 v[7:8], v7
	s_waitcnt lgkmcnt(0)
	v_cmp_eq_u64_e32 vcc, v[3:4], v[7:8]
	s_and_saveexec_b64 s[18:19], vcc
	s_cbranch_execz .LBB96_28
; %bb.27:
	v_add_u32_e32 v7, 0xffffff00, v18
	ds_read_b64 v[7:8], v7
	s_waitcnt lgkmcnt(0)
	v_add_f64 v[5:6], v[5:6], v[7:8]
.LBB96_28:
	s_or_b64 exec, exec, s[18:19]
.LBB96_29:
	;; [unrolled: 23-line block ×3, first 2 shown]
	s_or_b64 exec, exec, s[18:19]
	s_load_dwordx2 s[44:45], s[4:5], 0x38
	s_movk_i32 s18, 0x7f
	v_cmp_lt_u32_e64 s[18:19], s18, v0
	s_waitcnt lgkmcnt(0)
	s_barrier
	ds_write_b64 v18, v[5:6]
	s_waitcnt lgkmcnt(0)
	s_barrier
	s_and_saveexec_b64 s[20:21], s[18:19]
	s_cbranch_execz .LBB96_37
; %bb.34:
	v_add_u32_e32 v7, 0xfffffc00, v17
	ds_read_b64 v[7:8], v7
	s_waitcnt lgkmcnt(0)
	v_cmp_eq_u64_e32 vcc, v[3:4], v[7:8]
	s_and_saveexec_b64 s[24:25], vcc
	s_cbranch_execz .LBB96_36
; %bb.35:
	v_add_u32_e32 v7, 0xfffffc00, v18
	ds_read_b64 v[7:8], v7
	s_waitcnt lgkmcnt(0)
	v_add_f64 v[5:6], v[5:6], v[7:8]
.LBB96_36:
	s_or_b64 exec, exec, s[24:25]
.LBB96_37:
	s_or_b64 exec, exec, s[20:21]
	s_movk_i32 s20, 0xff
	v_cmp_gt_u32_e64 s[20:21], s20, v0
	s_barrier
	ds_write_b64 v18, v[5:6]
	s_waitcnt lgkmcnt(0)
	s_barrier
	s_and_saveexec_b64 s[26:27], s[20:21]
	s_cbranch_execz .LBB96_40
; %bb.38:
	ds_read_b64 v[7:8], v17 offset:8
	v_cmp_lt_i64_e64 s[24:25], -1, v[3:4]
	s_waitcnt lgkmcnt(0)
	v_cmp_ne_u64_e32 vcc, v[3:4], v[7:8]
	s_and_b64 s[24:25], s[24:25], vcc
	s_and_b64 exec, exec, s[24:25]
	s_cbranch_execz .LBB96_40
; %bb.39:
	v_lshlrev_b64 v[7:8], 3, v[3:4]
	v_mov_b32_e32 v11, s45
	v_add_co_u32_e32 v7, vcc, s44, v7
	v_addc_co_u32_e32 v8, vcc, v11, v8, vcc
	global_load_dwordx2 v[11:12], v[7:8], off
	s_waitcnt vmcnt(0)
	v_fma_f64 v[11:12], v[1:2], v[5:6], v[11:12]
	global_store_dwordx2 v[7:8], v[11:12], off
.LBB96_40:
	s_or_b64 exec, exec, s[26:27]
	s_load_dwordx4 s[24:27], s[4:5], 0x40
	v_cmp_lt_i64_e64 s[4:5], s[30:31], 2
	s_and_b64 vcc, exec, s[4:5]
	s_cbranch_vccnz .LBB96_87
; %bb.41:
	s_add_u32 s46, s30, -1
	s_addc_u32 s47, s31, -1
	s_ashr_i32 s35, s34, 31
	s_lshl_b64 s[4:5], s[34:35], 3
	s_sub_u32 s33, s42, s4
	s_subb_u32 s35, s43, s5
	s_mul_i32 s4, s31, s6
	s_mul_hi_u32 s5, s30, s6
	s_add_i32 s5, s5, s4
	s_mul_i32 s4, s30, s6
	s_lshl_b64 s[30:31], s[4:5], 11
	v_lshl_or_b32 v3, v0, 3, s30
	s_movk_i32 s30, 0x800
	v_mov_b32_e32 v4, s31
	v_add_co_u32_e32 v3, vcc, s30, v3
	v_addc_co_u32_e32 v4, vcc, 0, v4, vcc
	v_mov_b32_e32 v5, s39
	v_add_co_u32_e32 v7, vcc, s38, v3
	v_addc_co_u32_e32 v8, vcc, v5, v4, vcc
	v_mov_b32_e32 v6, s37
	v_add_co_u32_e32 v11, vcc, s36, v3
	s_lshl_b64 s[4:5], s[4:5], 10
	v_addc_co_u32_e32 v12, vcc, v6, v4, vcc
	s_movk_i32 s30, 0x100
	s_add_u32 s4, s40, s4
	v_add_co_u32_e32 v9, vcc, s30, v9
	v_lshlrev_b32_e32 v5, 2, v0
	s_addc_u32 s5, s41, s5
	v_addc_co_u32_e32 v10, vcc, 0, v10, vcc
	v_mov_b32_e32 v3, s5
	v_add_co_u32_e32 v4, vcc, s4, v5
	v_addc_co_u32_e32 v3, vcc, 0, v3, vcc
	s_movk_i32 s4, 0x400
	v_add_co_u32_e32 v13, vcc, s4, v4
	v_subrev_u32_e32 v23, 32, v18
	v_subrev_u32_e32 v24, 64, v18
	v_add_u32_e32 v25, 0xffffff80, v17
	v_add_u32_e32 v26, 0xffffff80, v18
	;; [unrolled: 1-line block ×4, first 2 shown]
	v_addc_co_u32_e32 v14, vcc, 0, v3, vcc
	v_add_u32_e32 v29, 0xfffffe00, v17
	s_mov_b64 s[30:31], 0
	v_add_u32_e32 v30, 0xfffffe00, v18
	v_add_u32_e32 v31, 0xfffffc00, v17
	;; [unrolled: 1-line block ×3, first 2 shown]
	v_mov_b32_e32 v33, 0
	s_branch .LBB96_43
.LBB96_42:                              ;   in Loop: Header=BB96_43 Depth=1
	s_or_b64 exec, exec, s[36:37]
	v_add_co_u32_e32 v7, vcc, 0x800, v7
	v_addc_co_u32_e32 v8, vcc, 0, v8, vcc
	v_add_co_u32_e32 v13, vcc, 0x400, v13
	v_addc_co_u32_e32 v14, vcc, 0, v14, vcc
	s_add_u32 s30, s30, 1
	v_add_co_u32_e32 v11, vcc, 0x800, v11
	s_addc_u32 s31, s31, 0
	v_mov_b32_e32 v15, s30
	v_addc_co_u32_e32 v12, vcc, 0, v12, vcc
	v_mov_b32_e32 v16, s31
	v_add_co_u32_e32 v9, vcc, 0x100, v9
	v_cmp_le_u64_e64 s[4:5], s[46:47], v[15:16]
	v_addc_co_u32_e32 v10, vcc, 0, v10, vcc
	s_and_b64 vcc, exec, s[4:5]
	s_cbranch_vccnz .LBB96_87
.LBB96_43:                              ; =>This Inner Loop Header: Depth=1
	v_cmp_gt_i64_e32 vcc, s[28:29], v[9:10]
	v_mov_b32_e32 v5, 0
	v_mov_b32_e32 v3, -1
	v_mov_b32_e32 v6, 0
	v_mov_b32_e32 v4, -1
	s_and_saveexec_b64 s[4:5], vcc
	s_cbranch_execz .LBB96_45
; %bb.44:                               ;   in Loop: Header=BB96_43 Depth=1
	global_load_dwordx2 v[3:4], v[7:8], off glc slc
	global_load_dword v34, v[13:14], off glc slc
	v_mov_b32_e32 v5, s35
	s_waitcnt vmcnt(1)
	v_lshlrev_b64 v[3:4], 3, v[3:4]
	v_add_co_u32_e32 v3, vcc, s33, v3
	v_addc_co_u32_e32 v4, vcc, v5, v4, vcc
	global_load_dwordx2 v[5:6], v[3:4], off
	global_load_dwordx2 v[15:16], v[11:12], off glc slc
	s_waitcnt vmcnt(2)
	v_cvt_f64_f32_e32 v[3:4], v34
	s_waitcnt vmcnt(1)
	v_mul_f64 v[5:6], v[5:6], v[3:4]
	s_waitcnt vmcnt(0)
	v_subrev_co_u32_e32 v3, vcc, s34, v15
	v_subbrev_co_u32_e32 v4, vcc, 0, v16, vcc
.LBB96_45:                              ;   in Loop: Header=BB96_43 Depth=1
	s_or_b64 exec, exec, s[4:5]
	s_and_saveexec_b64 s[4:5], s[0:1]
	s_cbranch_execz .LBB96_52
; %bb.46:                               ;   in Loop: Header=BB96_43 Depth=1
	ds_read_b64 v[15:16], v33 offset:2040
	s_waitcnt lgkmcnt(0)
	v_cmp_ne_u64_e32 vcc, v[3:4], v[15:16]
	s_and_saveexec_b64 s[36:37], vcc
	s_xor_b64 s[36:37], exec, s[36:37]
	s_cbranch_execz .LBB96_49
; %bb.47:                               ;   in Loop: Header=BB96_43 Depth=1
	v_cmp_gt_i64_e32 vcc, 0, v[15:16]
	s_cbranch_vccnz .LBB96_49
; %bb.48:                               ;   in Loop: Header=BB96_43 Depth=1
	v_lshlrev_b64 v[15:16], 3, v[15:16]
	v_mov_b32_e32 v34, s45
	v_add_co_u32_e32 v15, vcc, s44, v15
	v_addc_co_u32_e32 v16, vcc, v34, v16, vcc
	global_load_dwordx2 v[34:35], v[15:16], off
	ds_read_b64 v[36:37], v33 offset:4088
	s_waitcnt vmcnt(0) lgkmcnt(0)
	v_fma_f64 v[34:35], v[1:2], v[36:37], v[34:35]
	global_store_dwordx2 v[15:16], v[34:35], off
.LBB96_49:                              ;   in Loop: Header=BB96_43 Depth=1
	s_andn2_saveexec_b64 s[36:37], s[36:37]
	s_cbranch_execz .LBB96_51
; %bb.50:                               ;   in Loop: Header=BB96_43 Depth=1
	ds_read_b64 v[15:16], v33 offset:4088
	s_waitcnt lgkmcnt(0)
	v_add_f64 v[5:6], v[5:6], v[15:16]
.LBB96_51:                              ;   in Loop: Header=BB96_43 Depth=1
	s_or_b64 exec, exec, s[36:37]
.LBB96_52:                              ;   in Loop: Header=BB96_43 Depth=1
	s_or_b64 exec, exec, s[4:5]
	s_waitcnt vmcnt(0) lgkmcnt(0)
	s_barrier
	ds_write_b64 v17, v[3:4]
	ds_write_b64 v18, v[5:6]
	s_waitcnt lgkmcnt(0)
	s_barrier
	s_and_saveexec_b64 s[4:5], s[2:3]
	s_cbranch_execz .LBB96_56
; %bb.53:                               ;   in Loop: Header=BB96_43 Depth=1
	ds_read_b64 v[15:16], v19
	s_waitcnt lgkmcnt(0)
	v_cmp_eq_u64_e32 vcc, v[3:4], v[15:16]
	s_and_saveexec_b64 s[36:37], vcc
	s_cbranch_execz .LBB96_55
; %bb.54:                               ;   in Loop: Header=BB96_43 Depth=1
	v_add_u32_e32 v15, -8, v18
	ds_read_b64 v[15:16], v15
	s_waitcnt lgkmcnt(0)
	v_add_f64 v[5:6], v[5:6], v[15:16]
.LBB96_55:                              ;   in Loop: Header=BB96_43 Depth=1
	s_or_b64 exec, exec, s[36:37]
.LBB96_56:                              ;   in Loop: Header=BB96_43 Depth=1
	s_or_b64 exec, exec, s[4:5]
	s_barrier
	ds_write_b64 v18, v[5:6]
	s_waitcnt lgkmcnt(0)
	s_barrier
	s_and_saveexec_b64 s[4:5], s[22:23]
	s_cbranch_execz .LBB96_60
; %bb.57:                               ;   in Loop: Header=BB96_43 Depth=1
	ds_read_b64 v[15:16], v20
	s_waitcnt lgkmcnt(0)
	v_cmp_eq_u64_e32 vcc, v[3:4], v[15:16]
	s_and_saveexec_b64 s[36:37], vcc
	s_cbranch_execz .LBB96_59
; %bb.58:                               ;   in Loop: Header=BB96_43 Depth=1
	v_add_u32_e32 v15, -16, v18
	ds_read_b64 v[15:16], v15
	s_waitcnt lgkmcnt(0)
	v_add_f64 v[5:6], v[5:6], v[15:16]
.LBB96_59:                              ;   in Loop: Header=BB96_43 Depth=1
	s_or_b64 exec, exec, s[36:37]
.LBB96_60:                              ;   in Loop: Header=BB96_43 Depth=1
	s_or_b64 exec, exec, s[4:5]
	s_barrier
	ds_write_b64 v18, v[5:6]
	s_waitcnt lgkmcnt(0)
	s_barrier
	s_and_saveexec_b64 s[4:5], s[8:9]
	s_cbranch_execz .LBB96_64
; %bb.61:                               ;   in Loop: Header=BB96_43 Depth=1
	ds_read_b64 v[15:16], v21
	s_waitcnt lgkmcnt(0)
	v_cmp_eq_u64_e32 vcc, v[3:4], v[15:16]
	s_and_saveexec_b64 s[36:37], vcc
	s_cbranch_execz .LBB96_63
; %bb.62:                               ;   in Loop: Header=BB96_43 Depth=1
	ds_read_b64 v[15:16], v23
	s_waitcnt lgkmcnt(0)
	v_add_f64 v[5:6], v[5:6], v[15:16]
.LBB96_63:                              ;   in Loop: Header=BB96_43 Depth=1
	s_or_b64 exec, exec, s[36:37]
.LBB96_64:                              ;   in Loop: Header=BB96_43 Depth=1
	s_or_b64 exec, exec, s[4:5]
	s_barrier
	ds_write_b64 v18, v[5:6]
	s_waitcnt lgkmcnt(0)
	s_barrier
	s_and_saveexec_b64 s[4:5], s[10:11]
	s_cbranch_execz .LBB96_68
; %bb.65:                               ;   in Loop: Header=BB96_43 Depth=1
	ds_read_b64 v[15:16], v22
	s_waitcnt lgkmcnt(0)
	v_cmp_eq_u64_e32 vcc, v[3:4], v[15:16]
	s_and_saveexec_b64 s[36:37], vcc
	s_cbranch_execz .LBB96_67
; %bb.66:                               ;   in Loop: Header=BB96_43 Depth=1
	ds_read_b64 v[15:16], v24
	s_waitcnt lgkmcnt(0)
	v_add_f64 v[5:6], v[5:6], v[15:16]
.LBB96_67:                              ;   in Loop: Header=BB96_43 Depth=1
	s_or_b64 exec, exec, s[36:37]
.LBB96_68:                              ;   in Loop: Header=BB96_43 Depth=1
	;; [unrolled: 20-line block ×6, first 2 shown]
	s_or_b64 exec, exec, s[4:5]
	s_barrier
	ds_write_b64 v18, v[5:6]
	s_waitcnt lgkmcnt(0)
	s_barrier
	s_and_saveexec_b64 s[36:37], s[20:21]
	s_cbranch_execz .LBB96_42
; %bb.85:                               ;   in Loop: Header=BB96_43 Depth=1
	ds_read_b64 v[15:16], v17 offset:8
	v_cmp_lt_i64_e64 s[4:5], -1, v[3:4]
	s_waitcnt lgkmcnt(0)
	v_cmp_ne_u64_e32 vcc, v[3:4], v[15:16]
	s_and_b64 s[4:5], s[4:5], vcc
	s_and_b64 exec, exec, s[4:5]
	s_cbranch_execz .LBB96_42
; %bb.86:                               ;   in Loop: Header=BB96_43 Depth=1
	v_lshlrev_b64 v[15:16], 3, v[3:4]
	v_mov_b32_e32 v34, s45
	v_add_co_u32_e32 v15, vcc, s44, v15
	v_addc_co_u32_e32 v16, vcc, v34, v16, vcc
	global_load_dwordx2 v[34:35], v[15:16], off
	s_waitcnt vmcnt(0)
	v_fma_f64 v[34:35], v[1:2], v[5:6], v[34:35]
	global_store_dwordx2 v[15:16], v[34:35], off
	s_branch .LBB96_42
.LBB96_87:
	s_movk_i32 s0, 0xff
	v_cmp_eq_u32_e32 vcc, s0, v0
	s_and_b64 exec, exec, vcc
	s_cbranch_execz .LBB96_89
; %bb.88:
	v_mul_f64 v[0:1], v[1:2], v[5:6]
	s_lshl_b64 s[0:1], s[6:7], 3
	s_waitcnt lgkmcnt(0)
	s_add_u32 s2, s24, s0
	s_addc_u32 s3, s25, s1
	v_mov_b32_e32 v2, 0
	s_add_u32 s0, s26, s0
	s_addc_u32 s1, s27, s1
	global_store_dwordx2 v2, v[3:4], s[2:3] glc slc
	global_store_dwordx2 v2, v[0:1], s[0:1] glc slc
.LBB96_89:
	s_endpgm
	.section	.rodata,"a",@progbits
	.p2align	6, 0x0
	.amdhsa_kernel _ZN9rocsparseL22coomvn_segmented_loopsILj256ElfdddEEvlT0_NS_24const_host_device_scalarIT4_EEPKS1_S6_PKT1_PKT2_PT3_PS1_PS3_21rocsparse_index_base_b
		.amdhsa_group_segment_fixed_size 4096
		.amdhsa_private_segment_fixed_size 0
		.amdhsa_kernarg_size 88
		.amdhsa_user_sgpr_count 6
		.amdhsa_user_sgpr_private_segment_buffer 1
		.amdhsa_user_sgpr_dispatch_ptr 0
		.amdhsa_user_sgpr_queue_ptr 0
		.amdhsa_user_sgpr_kernarg_segment_ptr 1
		.amdhsa_user_sgpr_dispatch_id 0
		.amdhsa_user_sgpr_flat_scratch_init 0
		.amdhsa_user_sgpr_private_segment_size 0
		.amdhsa_uses_dynamic_stack 0
		.amdhsa_system_sgpr_private_segment_wavefront_offset 0
		.amdhsa_system_sgpr_workgroup_id_x 1
		.amdhsa_system_sgpr_workgroup_id_y 0
		.amdhsa_system_sgpr_workgroup_id_z 0
		.amdhsa_system_sgpr_workgroup_info 0
		.amdhsa_system_vgpr_workitem_id 0
		.amdhsa_next_free_vgpr 38
		.amdhsa_next_free_sgpr 48
		.amdhsa_reserve_vcc 1
		.amdhsa_reserve_flat_scratch 0
		.amdhsa_float_round_mode_32 0
		.amdhsa_float_round_mode_16_64 0
		.amdhsa_float_denorm_mode_32 3
		.amdhsa_float_denorm_mode_16_64 3
		.amdhsa_dx10_clamp 1
		.amdhsa_ieee_mode 1
		.amdhsa_fp16_overflow 0
		.amdhsa_exception_fp_ieee_invalid_op 0
		.amdhsa_exception_fp_denorm_src 0
		.amdhsa_exception_fp_ieee_div_zero 0
		.amdhsa_exception_fp_ieee_overflow 0
		.amdhsa_exception_fp_ieee_underflow 0
		.amdhsa_exception_fp_ieee_inexact 0
		.amdhsa_exception_int_div_zero 0
	.end_amdhsa_kernel
	.section	.text._ZN9rocsparseL22coomvn_segmented_loopsILj256ElfdddEEvlT0_NS_24const_host_device_scalarIT4_EEPKS1_S6_PKT1_PKT2_PT3_PS1_PS3_21rocsparse_index_base_b,"axG",@progbits,_ZN9rocsparseL22coomvn_segmented_loopsILj256ElfdddEEvlT0_NS_24const_host_device_scalarIT4_EEPKS1_S6_PKT1_PKT2_PT3_PS1_PS3_21rocsparse_index_base_b,comdat
.Lfunc_end96:
	.size	_ZN9rocsparseL22coomvn_segmented_loopsILj256ElfdddEEvlT0_NS_24const_host_device_scalarIT4_EEPKS1_S6_PKT1_PKT2_PT3_PS1_PS3_21rocsparse_index_base_b, .Lfunc_end96-_ZN9rocsparseL22coomvn_segmented_loopsILj256ElfdddEEvlT0_NS_24const_host_device_scalarIT4_EEPKS1_S6_PKT1_PKT2_PT3_PS1_PS3_21rocsparse_index_base_b
                                        ; -- End function
	.set _ZN9rocsparseL22coomvn_segmented_loopsILj256ElfdddEEvlT0_NS_24const_host_device_scalarIT4_EEPKS1_S6_PKT1_PKT2_PT3_PS1_PS3_21rocsparse_index_base_b.num_vgpr, 38
	.set _ZN9rocsparseL22coomvn_segmented_loopsILj256ElfdddEEvlT0_NS_24const_host_device_scalarIT4_EEPKS1_S6_PKT1_PKT2_PT3_PS1_PS3_21rocsparse_index_base_b.num_agpr, 0
	.set _ZN9rocsparseL22coomvn_segmented_loopsILj256ElfdddEEvlT0_NS_24const_host_device_scalarIT4_EEPKS1_S6_PKT1_PKT2_PT3_PS1_PS3_21rocsparse_index_base_b.numbered_sgpr, 48
	.set _ZN9rocsparseL22coomvn_segmented_loopsILj256ElfdddEEvlT0_NS_24const_host_device_scalarIT4_EEPKS1_S6_PKT1_PKT2_PT3_PS1_PS3_21rocsparse_index_base_b.num_named_barrier, 0
	.set _ZN9rocsparseL22coomvn_segmented_loopsILj256ElfdddEEvlT0_NS_24const_host_device_scalarIT4_EEPKS1_S6_PKT1_PKT2_PT3_PS1_PS3_21rocsparse_index_base_b.private_seg_size, 0
	.set _ZN9rocsparseL22coomvn_segmented_loopsILj256ElfdddEEvlT0_NS_24const_host_device_scalarIT4_EEPKS1_S6_PKT1_PKT2_PT3_PS1_PS3_21rocsparse_index_base_b.uses_vcc, 1
	.set _ZN9rocsparseL22coomvn_segmented_loopsILj256ElfdddEEvlT0_NS_24const_host_device_scalarIT4_EEPKS1_S6_PKT1_PKT2_PT3_PS1_PS3_21rocsparse_index_base_b.uses_flat_scratch, 0
	.set _ZN9rocsparseL22coomvn_segmented_loopsILj256ElfdddEEvlT0_NS_24const_host_device_scalarIT4_EEPKS1_S6_PKT1_PKT2_PT3_PS1_PS3_21rocsparse_index_base_b.has_dyn_sized_stack, 0
	.set _ZN9rocsparseL22coomvn_segmented_loopsILj256ElfdddEEvlT0_NS_24const_host_device_scalarIT4_EEPKS1_S6_PKT1_PKT2_PT3_PS1_PS3_21rocsparse_index_base_b.has_recursion, 0
	.set _ZN9rocsparseL22coomvn_segmented_loopsILj256ElfdddEEvlT0_NS_24const_host_device_scalarIT4_EEPKS1_S6_PKT1_PKT2_PT3_PS1_PS3_21rocsparse_index_base_b.has_indirect_call, 0
	.section	.AMDGPU.csdata,"",@progbits
; Kernel info:
; codeLenInByte = 2720
; TotalNumSgprs: 52
; NumVgprs: 38
; ScratchSize: 0
; MemoryBound: 1
; FloatMode: 240
; IeeeMode: 1
; LDSByteSize: 4096 bytes/workgroup (compile time only)
; SGPRBlocks: 6
; VGPRBlocks: 9
; NumSGPRsForWavesPerEU: 52
; NumVGPRsForWavesPerEU: 38
; Occupancy: 6
; WaveLimiterHint : 1
; COMPUTE_PGM_RSRC2:SCRATCH_EN: 0
; COMPUTE_PGM_RSRC2:USER_SGPR: 6
; COMPUTE_PGM_RSRC2:TRAP_HANDLER: 0
; COMPUTE_PGM_RSRC2:TGID_X_EN: 1
; COMPUTE_PGM_RSRC2:TGID_Y_EN: 0
; COMPUTE_PGM_RSRC2:TGID_Z_EN: 0
; COMPUTE_PGM_RSRC2:TIDIG_COMP_CNT: 0
	.section	.text._ZN9rocsparseL13coomvt_kernelILj1024ElfdddEEv20rocsparse_operation_lNS_24const_host_device_scalarIT4_EEPKT0_S7_PKT1_PKT2_PT3_21rocsparse_index_base_b,"axG",@progbits,_ZN9rocsparseL13coomvt_kernelILj1024ElfdddEEv20rocsparse_operation_lNS_24const_host_device_scalarIT4_EEPKT0_S7_PKT1_PKT2_PT3_21rocsparse_index_base_b,comdat
	.globl	_ZN9rocsparseL13coomvt_kernelILj1024ElfdddEEv20rocsparse_operation_lNS_24const_host_device_scalarIT4_EEPKT0_S7_PKT1_PKT2_PT3_21rocsparse_index_base_b ; -- Begin function _ZN9rocsparseL13coomvt_kernelILj1024ElfdddEEv20rocsparse_operation_lNS_24const_host_device_scalarIT4_EEPKT0_S7_PKT1_PKT2_PT3_21rocsparse_index_base_b
	.p2align	8
	.type	_ZN9rocsparseL13coomvt_kernelILj1024ElfdddEEv20rocsparse_operation_lNS_24const_host_device_scalarIT4_EEPKT0_S7_PKT1_PKT2_PT3_21rocsparse_index_base_b,@function
_ZN9rocsparseL13coomvt_kernelILj1024ElfdddEEv20rocsparse_operation_lNS_24const_host_device_scalarIT4_EEPKT0_S7_PKT1_PKT2_PT3_21rocsparse_index_base_b: ; @_ZN9rocsparseL13coomvt_kernelILj1024ElfdddEEv20rocsparse_operation_lNS_24const_host_device_scalarIT4_EEPKT0_S7_PKT1_PKT2_PT3_21rocsparse_index_base_b
; %bb.0:
	s_load_dwordx2 s[16:17], s[4:5], 0x40
	s_load_dwordx4 s[0:3], s[4:5], 0x8
	s_waitcnt lgkmcnt(0)
	s_bitcmp1_b32 s17, 0
	s_cselect_b64 s[8:9], -1, 0
	v_mov_b32_e32 v5, s3
	s_and_b64 vcc, exec, s[8:9]
	v_mov_b32_e32 v4, s2
	s_cbranch_vccnz .LBB97_2
; %bb.1:
	v_mov_b32_e32 v1, s2
	v_mov_b32_e32 v2, s3
	flat_load_dwordx2 v[4:5], v[1:2]
.LBB97_2:
	s_waitcnt vmcnt(0) lgkmcnt(0)
	v_cmp_neq_f64_e32 vcc, 0, v[4:5]
	s_and_saveexec_b64 s[2:3], vcc
	s_cbranch_execz .LBB97_6
; %bb.3:
	s_load_dword s2, s[4:5], 0x54
	v_mov_b32_e32 v1, 0
	s_waitcnt lgkmcnt(0)
	s_and_b32 s2, s2, 0xffff
	s_mul_i32 s6, s6, s2
	v_add_u32_e32 v0, s6, v0
	v_cmp_gt_i64_e32 vcc, s[0:1], v[0:1]
	s_and_b64 exec, exec, vcc
	s_cbranch_execz .LBB97_6
; %bb.4:
	s_load_dwordx8 s[8:15], s[4:5], 0x18
	v_lshlrev_b64 v[2:3], 3, v[0:1]
	v_lshlrev_b64 v[0:1], 2, v[0:1]
	s_load_dwordx2 s[0:1], s[4:5], 0x38
	s_waitcnt lgkmcnt(0)
	v_mov_b32_e32 v7, s9
	v_add_co_u32_e32 v6, vcc, s8, v2
	v_addc_co_u32_e32 v7, vcc, v7, v3, vcc
	global_load_dwordx2 v[6:7], v[6:7], off
	v_mov_b32_e32 v8, s11
	v_add_co_u32_e32 v2, vcc, s10, v2
	v_addc_co_u32_e32 v3, vcc, v8, v3, vcc
	global_load_dwordx2 v[2:3], v[2:3], off
	v_mov_b32_e32 v8, s13
	v_add_co_u32_e32 v0, vcc, s12, v0
	v_addc_co_u32_e32 v1, vcc, v8, v1, vcc
	global_load_dword v8, v[0:1], off
	v_mov_b32_e32 v9, s15
	s_waitcnt vmcnt(2)
	v_subrev_co_u32_e32 v0, vcc, s16, v6
	v_subbrev_co_u32_e32 v1, vcc, 0, v7, vcc
	v_lshlrev_b64 v[0:1], 3, v[0:1]
	v_mov_b32_e32 v7, s1
	v_add_co_u32_e32 v0, vcc, s14, v0
	v_addc_co_u32_e32 v1, vcc, v9, v1, vcc
	global_load_dwordx2 v[0:1], v[0:1], off
	s_waitcnt vmcnt(2)
	v_subrev_co_u32_e32 v2, vcc, s16, v2
	v_subbrev_co_u32_e32 v3, vcc, 0, v3, vcc
	v_lshlrev_b64 v[2:3], 3, v[2:3]
	s_waitcnt vmcnt(1)
	v_cvt_f64_f32_e32 v[8:9], v8
	v_add_co_u32_e32 v6, vcc, s0, v2
	v_addc_co_u32_e32 v7, vcc, v7, v3, vcc
	global_load_dwordx2 v[2:3], v[6:7], off
	v_mul_f64 v[4:5], v[4:5], v[8:9]
	s_mov_b64 s[0:1], 0
	s_waitcnt vmcnt(1)
	v_mul_f64 v[4:5], v[0:1], v[4:5]
.LBB97_5:                               ; =>This Inner Loop Header: Depth=1
	s_waitcnt vmcnt(0)
	v_add_f64 v[0:1], v[2:3], v[4:5]
	global_atomic_cmpswap_x2 v[0:1], v[6:7], v[0:3], off glc
	s_waitcnt vmcnt(0)
	v_cmp_eq_u64_e32 vcc, v[0:1], v[2:3]
	v_mov_b32_e32 v3, v1
	s_or_b64 s[0:1], vcc, s[0:1]
	v_mov_b32_e32 v2, v0
	s_andn2_b64 exec, exec, s[0:1]
	s_cbranch_execnz .LBB97_5
.LBB97_6:
	s_endpgm
	.section	.rodata,"a",@progbits
	.p2align	6, 0x0
	.amdhsa_kernel _ZN9rocsparseL13coomvt_kernelILj1024ElfdddEEv20rocsparse_operation_lNS_24const_host_device_scalarIT4_EEPKT0_S7_PKT1_PKT2_PT3_21rocsparse_index_base_b
		.amdhsa_group_segment_fixed_size 0
		.amdhsa_private_segment_fixed_size 0
		.amdhsa_kernarg_size 328
		.amdhsa_user_sgpr_count 6
		.amdhsa_user_sgpr_private_segment_buffer 1
		.amdhsa_user_sgpr_dispatch_ptr 0
		.amdhsa_user_sgpr_queue_ptr 0
		.amdhsa_user_sgpr_kernarg_segment_ptr 1
		.amdhsa_user_sgpr_dispatch_id 0
		.amdhsa_user_sgpr_flat_scratch_init 0
		.amdhsa_user_sgpr_private_segment_size 0
		.amdhsa_uses_dynamic_stack 0
		.amdhsa_system_sgpr_private_segment_wavefront_offset 0
		.amdhsa_system_sgpr_workgroup_id_x 1
		.amdhsa_system_sgpr_workgroup_id_y 0
		.amdhsa_system_sgpr_workgroup_id_z 0
		.amdhsa_system_sgpr_workgroup_info 0
		.amdhsa_system_vgpr_workitem_id 0
		.amdhsa_next_free_vgpr 10
		.amdhsa_next_free_sgpr 18
		.amdhsa_reserve_vcc 1
		.amdhsa_reserve_flat_scratch 0
		.amdhsa_float_round_mode_32 0
		.amdhsa_float_round_mode_16_64 0
		.amdhsa_float_denorm_mode_32 3
		.amdhsa_float_denorm_mode_16_64 3
		.amdhsa_dx10_clamp 1
		.amdhsa_ieee_mode 1
		.amdhsa_fp16_overflow 0
		.amdhsa_exception_fp_ieee_invalid_op 0
		.amdhsa_exception_fp_denorm_src 0
		.amdhsa_exception_fp_ieee_div_zero 0
		.amdhsa_exception_fp_ieee_overflow 0
		.amdhsa_exception_fp_ieee_underflow 0
		.amdhsa_exception_fp_ieee_inexact 0
		.amdhsa_exception_int_div_zero 0
	.end_amdhsa_kernel
	.section	.text._ZN9rocsparseL13coomvt_kernelILj1024ElfdddEEv20rocsparse_operation_lNS_24const_host_device_scalarIT4_EEPKT0_S7_PKT1_PKT2_PT3_21rocsparse_index_base_b,"axG",@progbits,_ZN9rocsparseL13coomvt_kernelILj1024ElfdddEEv20rocsparse_operation_lNS_24const_host_device_scalarIT4_EEPKT0_S7_PKT1_PKT2_PT3_21rocsparse_index_base_b,comdat
.Lfunc_end97:
	.size	_ZN9rocsparseL13coomvt_kernelILj1024ElfdddEEv20rocsparse_operation_lNS_24const_host_device_scalarIT4_EEPKT0_S7_PKT1_PKT2_PT3_21rocsparse_index_base_b, .Lfunc_end97-_ZN9rocsparseL13coomvt_kernelILj1024ElfdddEEv20rocsparse_operation_lNS_24const_host_device_scalarIT4_EEPKT0_S7_PKT1_PKT2_PT3_21rocsparse_index_base_b
                                        ; -- End function
	.set _ZN9rocsparseL13coomvt_kernelILj1024ElfdddEEv20rocsparse_operation_lNS_24const_host_device_scalarIT4_EEPKT0_S7_PKT1_PKT2_PT3_21rocsparse_index_base_b.num_vgpr, 10
	.set _ZN9rocsparseL13coomvt_kernelILj1024ElfdddEEv20rocsparse_operation_lNS_24const_host_device_scalarIT4_EEPKT0_S7_PKT1_PKT2_PT3_21rocsparse_index_base_b.num_agpr, 0
	.set _ZN9rocsparseL13coomvt_kernelILj1024ElfdddEEv20rocsparse_operation_lNS_24const_host_device_scalarIT4_EEPKT0_S7_PKT1_PKT2_PT3_21rocsparse_index_base_b.numbered_sgpr, 18
	.set _ZN9rocsparseL13coomvt_kernelILj1024ElfdddEEv20rocsparse_operation_lNS_24const_host_device_scalarIT4_EEPKT0_S7_PKT1_PKT2_PT3_21rocsparse_index_base_b.num_named_barrier, 0
	.set _ZN9rocsparseL13coomvt_kernelILj1024ElfdddEEv20rocsparse_operation_lNS_24const_host_device_scalarIT4_EEPKT0_S7_PKT1_PKT2_PT3_21rocsparse_index_base_b.private_seg_size, 0
	.set _ZN9rocsparseL13coomvt_kernelILj1024ElfdddEEv20rocsparse_operation_lNS_24const_host_device_scalarIT4_EEPKT0_S7_PKT1_PKT2_PT3_21rocsparse_index_base_b.uses_vcc, 1
	.set _ZN9rocsparseL13coomvt_kernelILj1024ElfdddEEv20rocsparse_operation_lNS_24const_host_device_scalarIT4_EEPKT0_S7_PKT1_PKT2_PT3_21rocsparse_index_base_b.uses_flat_scratch, 0
	.set _ZN9rocsparseL13coomvt_kernelILj1024ElfdddEEv20rocsparse_operation_lNS_24const_host_device_scalarIT4_EEPKT0_S7_PKT1_PKT2_PT3_21rocsparse_index_base_b.has_dyn_sized_stack, 0
	.set _ZN9rocsparseL13coomvt_kernelILj1024ElfdddEEv20rocsparse_operation_lNS_24const_host_device_scalarIT4_EEPKT0_S7_PKT1_PKT2_PT3_21rocsparse_index_base_b.has_recursion, 0
	.set _ZN9rocsparseL13coomvt_kernelILj1024ElfdddEEv20rocsparse_operation_lNS_24const_host_device_scalarIT4_EEPKT0_S7_PKT1_PKT2_PT3_21rocsparse_index_base_b.has_indirect_call, 0
	.section	.AMDGPU.csdata,"",@progbits
; Kernel info:
; codeLenInByte = 380
; TotalNumSgprs: 22
; NumVgprs: 10
; ScratchSize: 0
; MemoryBound: 0
; FloatMode: 240
; IeeeMode: 1
; LDSByteSize: 0 bytes/workgroup (compile time only)
; SGPRBlocks: 2
; VGPRBlocks: 2
; NumSGPRsForWavesPerEU: 22
; NumVGPRsForWavesPerEU: 10
; Occupancy: 10
; WaveLimiterHint : 1
; COMPUTE_PGM_RSRC2:SCRATCH_EN: 0
; COMPUTE_PGM_RSRC2:USER_SGPR: 6
; COMPUTE_PGM_RSRC2:TRAP_HANDLER: 0
; COMPUTE_PGM_RSRC2:TGID_X_EN: 1
; COMPUTE_PGM_RSRC2:TGID_Y_EN: 0
; COMPUTE_PGM_RSRC2:TGID_Z_EN: 0
; COMPUTE_PGM_RSRC2:TIDIG_COMP_CNT: 0
	.section	.text._ZN9rocsparseL19coomvn_atomic_loopsILj256ELj1ElfdddEEvlNS_24const_host_device_scalarIT5_EEPKT1_S6_PKT2_PKT3_PT4_21rocsparse_index_base_b,"axG",@progbits,_ZN9rocsparseL19coomvn_atomic_loopsILj256ELj1ElfdddEEvlNS_24const_host_device_scalarIT5_EEPKT1_S6_PKT2_PKT3_PT4_21rocsparse_index_base_b,comdat
	.globl	_ZN9rocsparseL19coomvn_atomic_loopsILj256ELj1ElfdddEEvlNS_24const_host_device_scalarIT5_EEPKT1_S6_PKT2_PKT3_PT4_21rocsparse_index_base_b ; -- Begin function _ZN9rocsparseL19coomvn_atomic_loopsILj256ELj1ElfdddEEvlNS_24const_host_device_scalarIT5_EEPKT1_S6_PKT2_PKT3_PT4_21rocsparse_index_base_b
	.p2align	8
	.type	_ZN9rocsparseL19coomvn_atomic_loopsILj256ELj1ElfdddEEvlNS_24const_host_device_scalarIT5_EEPKT1_S6_PKT2_PKT3_PT4_21rocsparse_index_base_b,@function
_ZN9rocsparseL19coomvn_atomic_loopsILj256ELj1ElfdddEEvlNS_24const_host_device_scalarIT5_EEPKT1_S6_PKT2_PKT3_PT4_21rocsparse_index_base_b: ; @_ZN9rocsparseL19coomvn_atomic_loopsILj256ELj1ElfdddEEvlNS_24const_host_device_scalarIT5_EEPKT1_S6_PKT2_PKT3_PT4_21rocsparse_index_base_b
; %bb.0:
	s_load_dwordx2 s[16:17], s[4:5], 0x38
	s_load_dwordx4 s[0:3], s[4:5], 0x0
	s_waitcnt lgkmcnt(0)
	s_bitcmp1_b32 s17, 0
	s_cselect_b64 s[8:9], -1, 0
	v_mov_b32_e32 v6, s3
	s_and_b64 vcc, exec, s[8:9]
	v_mov_b32_e32 v5, s2
	s_cbranch_vccnz .LBB98_2
; %bb.1:
	v_mov_b32_e32 v1, s2
	v_mov_b32_e32 v2, s3
	flat_load_dwordx2 v[5:6], v[1:2]
.LBB98_2:
	s_waitcnt vmcnt(0) lgkmcnt(0)
	v_cmp_neq_f64_e32 vcc, 0, v[5:6]
	s_and_saveexec_b64 s[2:3], vcc
	s_cbranch_execz .LBB98_44
; %bb.3:
	v_lshl_or_b32 v1, s6, 8, v0
	v_mov_b32_e32 v2, 0
	v_cmp_gt_i64_e32 vcc, s[0:1], v[1:2]
	v_mov_b32_e32 v9, -1
	v_mov_b32_e32 v7, 0
	v_mov_b32_e32 v10, -1
	v_mov_b32_e32 v8, 0
	s_and_saveexec_b64 s[0:1], vcc
	s_cbranch_execz .LBB98_5
; %bb.4:
	s_load_dwordx8 s[8:15], s[4:5], 0x10
	v_lshlrev_b64 v[3:4], 3, v[1:2]
	v_lshlrev_b64 v[1:2], 2, v[1:2]
	s_waitcnt lgkmcnt(0)
	v_mov_b32_e32 v8, s11
	v_add_co_u32_e32 v7, vcc, s10, v3
	v_addc_co_u32_e32 v8, vcc, v8, v4, vcc
	global_load_dwordx2 v[7:8], v[7:8], off glc slc
	v_mov_b32_e32 v10, s13
	v_add_co_u32_e32 v1, vcc, s12, v1
	v_addc_co_u32_e32 v2, vcc, v10, v2, vcc
	global_load_dword v10, v[1:2], off glc slc
	v_mov_b32_e32 v11, s15
	v_mov_b32_e32 v9, s9
	s_waitcnt vmcnt(1)
	v_subrev_co_u32_e32 v1, vcc, s16, v7
	v_subbrev_co_u32_e32 v2, vcc, 0, v8, vcc
	v_lshlrev_b64 v[1:2], 3, v[1:2]
	v_add_co_u32_e32 v1, vcc, s14, v1
	v_addc_co_u32_e32 v2, vcc, v11, v2, vcc
	global_load_dwordx2 v[1:2], v[1:2], off
	v_add_co_u32_e32 v3, vcc, s8, v3
	v_addc_co_u32_e32 v4, vcc, v9, v4, vcc
	global_load_dwordx2 v[3:4], v[3:4], off glc slc
	s_waitcnt vmcnt(2)
	v_cvt_f64_f32_e32 v[7:8], v10
	s_waitcnt vmcnt(1)
	v_mul_f64 v[7:8], v[1:2], v[7:8]
	s_waitcnt vmcnt(0)
	v_subrev_co_u32_e32 v9, vcc, s16, v3
	v_subbrev_co_u32_e32 v10, vcc, 0, v4, vcc
.LBB98_5:
	s_or_b64 exec, exec, s[0:1]
	v_lshlrev_b32_e32 v1, 3, v0
	v_or_b32_e32 v2, 0x800, v1
	v_cmp_ne_u32_e32 vcc, 0, v0
	ds_write2st64_b64 v1, v[9:10], v[7:8] offset1:4
	s_waitcnt lgkmcnt(0)
	s_barrier
	s_and_saveexec_b64 s[0:1], vcc
	s_cbranch_execz .LBB98_9
; %bb.6:
	v_add_u32_e32 v3, -8, v1
	ds_read_b64 v[3:4], v3
	s_waitcnt lgkmcnt(0)
	v_cmp_eq_u64_e32 vcc, v[9:10], v[3:4]
	s_and_saveexec_b64 s[2:3], vcc
	s_cbranch_execz .LBB98_8
; %bb.7:
	v_add_u32_e32 v3, -8, v2
	ds_read_b64 v[3:4], v3
	s_waitcnt lgkmcnt(0)
	v_add_f64 v[7:8], v[7:8], v[3:4]
.LBB98_8:
	s_or_b64 exec, exec, s[2:3]
.LBB98_9:
	s_or_b64 exec, exec, s[0:1]
	v_cmp_lt_u32_e32 vcc, 1, v0
	s_barrier
	ds_write_b64 v2, v[7:8]
	s_waitcnt lgkmcnt(0)
	s_barrier
	s_and_saveexec_b64 s[0:1], vcc
	s_cbranch_execz .LBB98_13
; %bb.10:
	v_add_u32_e32 v3, -16, v1
	ds_read_b64 v[3:4], v3
	s_waitcnt lgkmcnt(0)
	v_cmp_eq_u64_e32 vcc, v[9:10], v[3:4]
	s_and_saveexec_b64 s[2:3], vcc
	s_cbranch_execz .LBB98_12
; %bb.11:
	v_add_u32_e32 v3, -16, v2
	ds_read_b64 v[3:4], v3
	s_waitcnt lgkmcnt(0)
	v_add_f64 v[7:8], v[7:8], v[3:4]
.LBB98_12:
	s_or_b64 exec, exec, s[2:3]
.LBB98_13:
	s_or_b64 exec, exec, s[0:1]
	v_cmp_lt_u32_e32 vcc, 3, v0
	s_barrier
	ds_write_b64 v2, v[7:8]
	s_waitcnt lgkmcnt(0)
	s_barrier
	s_and_saveexec_b64 s[0:1], vcc
	s_cbranch_execz .LBB98_17
; %bb.14:
	v_subrev_u32_e32 v3, 32, v1
	ds_read_b64 v[3:4], v3
	s_waitcnt lgkmcnt(0)
	v_cmp_eq_u64_e32 vcc, v[9:10], v[3:4]
	s_and_saveexec_b64 s[2:3], vcc
	s_cbranch_execz .LBB98_16
; %bb.15:
	v_subrev_u32_e32 v3, 32, v2
	ds_read_b64 v[3:4], v3
	s_waitcnt lgkmcnt(0)
	v_add_f64 v[7:8], v[7:8], v[3:4]
.LBB98_16:
	s_or_b64 exec, exec, s[2:3]
.LBB98_17:
	s_or_b64 exec, exec, s[0:1]
	v_cmp_lt_u32_e32 vcc, 7, v0
	s_barrier
	ds_write_b64 v2, v[7:8]
	s_waitcnt lgkmcnt(0)
	s_barrier
	s_and_saveexec_b64 s[0:1], vcc
	s_cbranch_execz .LBB98_21
; %bb.18:
	v_subrev_u32_e32 v3, 64, v1
	ds_read_b64 v[3:4], v3
	s_waitcnt lgkmcnt(0)
	v_cmp_eq_u64_e32 vcc, v[9:10], v[3:4]
	s_and_saveexec_b64 s[2:3], vcc
	s_cbranch_execz .LBB98_20
; %bb.19:
	v_subrev_u32_e32 v3, 64, v2
	ds_read_b64 v[3:4], v3
	s_waitcnt lgkmcnt(0)
	v_add_f64 v[7:8], v[7:8], v[3:4]
.LBB98_20:
	s_or_b64 exec, exec, s[2:3]
.LBB98_21:
	s_or_b64 exec, exec, s[0:1]
	v_cmp_lt_u32_e32 vcc, 15, v0
	s_barrier
	ds_write_b64 v2, v[7:8]
	s_waitcnt lgkmcnt(0)
	s_barrier
	s_and_saveexec_b64 s[0:1], vcc
	s_cbranch_execz .LBB98_25
; %bb.22:
	v_add_u32_e32 v3, 0xffffff80, v1
	ds_read_b64 v[3:4], v3
	s_waitcnt lgkmcnt(0)
	v_cmp_eq_u64_e32 vcc, v[9:10], v[3:4]
	s_and_saveexec_b64 s[2:3], vcc
	s_cbranch_execz .LBB98_24
; %bb.23:
	v_add_u32_e32 v3, 0xffffff80, v2
	ds_read_b64 v[3:4], v3
	s_waitcnt lgkmcnt(0)
	v_add_f64 v[7:8], v[7:8], v[3:4]
.LBB98_24:
	s_or_b64 exec, exec, s[2:3]
.LBB98_25:
	s_or_b64 exec, exec, s[0:1]
	v_cmp_lt_u32_e32 vcc, 31, v0
	s_barrier
	ds_write_b64 v2, v[7:8]
	s_waitcnt lgkmcnt(0)
	s_barrier
	s_and_saveexec_b64 s[0:1], vcc
	s_cbranch_execz .LBB98_29
; %bb.26:
	v_add_u32_e32 v3, 0xffffff00, v1
	ds_read_b64 v[3:4], v3
	s_waitcnt lgkmcnt(0)
	v_cmp_eq_u64_e32 vcc, v[9:10], v[3:4]
	s_and_saveexec_b64 s[2:3], vcc
	s_cbranch_execz .LBB98_28
; %bb.27:
	v_add_u32_e32 v3, 0xffffff00, v2
	ds_read_b64 v[3:4], v3
	s_waitcnt lgkmcnt(0)
	v_add_f64 v[7:8], v[7:8], v[3:4]
.LBB98_28:
	s_or_b64 exec, exec, s[2:3]
.LBB98_29:
	;; [unrolled: 23-line block ×3, first 2 shown]
	s_or_b64 exec, exec, s[0:1]
	s_load_dwordx2 s[2:3], s[4:5], 0x30
	s_movk_i32 s0, 0x7f
	v_cmp_lt_u32_e32 vcc, s0, v0
	s_waitcnt lgkmcnt(0)
	s_barrier
	ds_write_b64 v2, v[7:8]
	s_waitcnt lgkmcnt(0)
	s_barrier
	s_and_saveexec_b64 s[0:1], vcc
	s_cbranch_execz .LBB98_37
; %bb.34:
	v_add_u32_e32 v3, 0xfffffc00, v1
	ds_read_b64 v[3:4], v3
	s_waitcnt lgkmcnt(0)
	v_cmp_eq_u64_e32 vcc, v[9:10], v[3:4]
	s_and_saveexec_b64 s[4:5], vcc
	s_cbranch_execz .LBB98_36
; %bb.35:
	v_add_u32_e32 v3, 0xfffffc00, v2
	ds_read_b64 v[3:4], v3
	s_waitcnt lgkmcnt(0)
	v_add_f64 v[7:8], v[7:8], v[3:4]
.LBB98_36:
	s_or_b64 exec, exec, s[4:5]
.LBB98_37:
	s_or_b64 exec, exec, s[0:1]
	s_movk_i32 s6, 0xff
	v_cmp_gt_u32_e32 vcc, s6, v0
	s_barrier
	ds_write_b64 v2, v[7:8]
	s_waitcnt lgkmcnt(0)
	s_barrier
	s_and_saveexec_b64 s[4:5], vcc
	s_cbranch_execz .LBB98_41
; %bb.38:
	ds_read_b64 v[1:2], v1 offset:8
	v_cmp_lt_i64_e64 s[0:1], -1, v[9:10]
	s_waitcnt lgkmcnt(0)
	v_cmp_ne_u64_e32 vcc, v[9:10], v[1:2]
	s_and_b64 s[0:1], s[0:1], vcc
	s_and_b64 exec, exec, s[0:1]
	s_cbranch_execz .LBB98_41
; %bb.39:
	v_lshlrev_b64 v[1:2], 3, v[9:10]
	v_mov_b32_e32 v3, s3
	v_add_co_u32_e32 v11, vcc, s2, v1
	v_addc_co_u32_e32 v12, vcc, v3, v2, vcc
	global_load_dwordx2 v[3:4], v[11:12], off
	v_mul_f64 v[13:14], v[5:6], v[7:8]
	s_mov_b64 s[0:1], 0
.LBB98_40:                              ; =>This Inner Loop Header: Depth=1
	s_waitcnt vmcnt(0)
	v_add_f64 v[1:2], v[3:4], v[13:14]
	global_atomic_cmpswap_x2 v[1:2], v[11:12], v[1:4], off glc
	s_waitcnt vmcnt(0)
	v_cmp_eq_u64_e32 vcc, v[1:2], v[3:4]
	v_mov_b32_e32 v4, v2
	s_or_b64 s[0:1], vcc, s[0:1]
	v_mov_b32_e32 v3, v1
	s_andn2_b64 exec, exec, s[0:1]
	s_cbranch_execnz .LBB98_40
.LBB98_41:
	s_or_b64 exec, exec, s[4:5]
	v_cmp_lt_i64_e32 vcc, -1, v[9:10]
	v_cmp_eq_u32_e64 s[0:1], s6, v0
	s_and_b64 s[0:1], s[0:1], vcc
	s_and_b64 exec, exec, s[0:1]
	s_cbranch_execz .LBB98_44
; %bb.42:
	v_lshlrev_b64 v[0:1], 3, v[9:10]
	v_mov_b32_e32 v2, s3
	v_add_co_u32_e32 v9, vcc, s2, v0
	v_addc_co_u32_e32 v10, vcc, v2, v1, vcc
	global_load_dwordx2 v[2:3], v[9:10], off
	v_mul_f64 v[4:5], v[5:6], v[7:8]
	s_mov_b64 s[0:1], 0
.LBB98_43:                              ; =>This Inner Loop Header: Depth=1
	s_waitcnt vmcnt(0)
	v_add_f64 v[0:1], v[2:3], v[4:5]
	global_atomic_cmpswap_x2 v[0:1], v[9:10], v[0:3], off glc
	s_waitcnt vmcnt(0)
	v_cmp_eq_u64_e32 vcc, v[0:1], v[2:3]
	v_mov_b32_e32 v3, v1
	s_or_b64 s[0:1], vcc, s[0:1]
	v_mov_b32_e32 v2, v0
	s_andn2_b64 exec, exec, s[0:1]
	s_cbranch_execnz .LBB98_43
.LBB98_44:
	s_endpgm
	.section	.rodata,"a",@progbits
	.p2align	6, 0x0
	.amdhsa_kernel _ZN9rocsparseL19coomvn_atomic_loopsILj256ELj1ElfdddEEvlNS_24const_host_device_scalarIT5_EEPKT1_S6_PKT2_PKT3_PT4_21rocsparse_index_base_b
		.amdhsa_group_segment_fixed_size 4096
		.amdhsa_private_segment_fixed_size 0
		.amdhsa_kernarg_size 64
		.amdhsa_user_sgpr_count 6
		.amdhsa_user_sgpr_private_segment_buffer 1
		.amdhsa_user_sgpr_dispatch_ptr 0
		.amdhsa_user_sgpr_queue_ptr 0
		.amdhsa_user_sgpr_kernarg_segment_ptr 1
		.amdhsa_user_sgpr_dispatch_id 0
		.amdhsa_user_sgpr_flat_scratch_init 0
		.amdhsa_user_sgpr_private_segment_size 0
		.amdhsa_uses_dynamic_stack 0
		.amdhsa_system_sgpr_private_segment_wavefront_offset 0
		.amdhsa_system_sgpr_workgroup_id_x 1
		.amdhsa_system_sgpr_workgroup_id_y 0
		.amdhsa_system_sgpr_workgroup_id_z 0
		.amdhsa_system_sgpr_workgroup_info 0
		.amdhsa_system_vgpr_workitem_id 0
		.amdhsa_next_free_vgpr 15
		.amdhsa_next_free_sgpr 18
		.amdhsa_reserve_vcc 1
		.amdhsa_reserve_flat_scratch 0
		.amdhsa_float_round_mode_32 0
		.amdhsa_float_round_mode_16_64 0
		.amdhsa_float_denorm_mode_32 3
		.amdhsa_float_denorm_mode_16_64 3
		.amdhsa_dx10_clamp 1
		.amdhsa_ieee_mode 1
		.amdhsa_fp16_overflow 0
		.amdhsa_exception_fp_ieee_invalid_op 0
		.amdhsa_exception_fp_denorm_src 0
		.amdhsa_exception_fp_ieee_div_zero 0
		.amdhsa_exception_fp_ieee_overflow 0
		.amdhsa_exception_fp_ieee_underflow 0
		.amdhsa_exception_fp_ieee_inexact 0
		.amdhsa_exception_int_div_zero 0
	.end_amdhsa_kernel
	.section	.text._ZN9rocsparseL19coomvn_atomic_loopsILj256ELj1ElfdddEEvlNS_24const_host_device_scalarIT5_EEPKT1_S6_PKT2_PKT3_PT4_21rocsparse_index_base_b,"axG",@progbits,_ZN9rocsparseL19coomvn_atomic_loopsILj256ELj1ElfdddEEvlNS_24const_host_device_scalarIT5_EEPKT1_S6_PKT2_PKT3_PT4_21rocsparse_index_base_b,comdat
.Lfunc_end98:
	.size	_ZN9rocsparseL19coomvn_atomic_loopsILj256ELj1ElfdddEEvlNS_24const_host_device_scalarIT5_EEPKT1_S6_PKT2_PKT3_PT4_21rocsparse_index_base_b, .Lfunc_end98-_ZN9rocsparseL19coomvn_atomic_loopsILj256ELj1ElfdddEEvlNS_24const_host_device_scalarIT5_EEPKT1_S6_PKT2_PKT3_PT4_21rocsparse_index_base_b
                                        ; -- End function
	.set _ZN9rocsparseL19coomvn_atomic_loopsILj256ELj1ElfdddEEvlNS_24const_host_device_scalarIT5_EEPKT1_S6_PKT2_PKT3_PT4_21rocsparse_index_base_b.num_vgpr, 15
	.set _ZN9rocsparseL19coomvn_atomic_loopsILj256ELj1ElfdddEEvlNS_24const_host_device_scalarIT5_EEPKT1_S6_PKT2_PKT3_PT4_21rocsparse_index_base_b.num_agpr, 0
	.set _ZN9rocsparseL19coomvn_atomic_loopsILj256ELj1ElfdddEEvlNS_24const_host_device_scalarIT5_EEPKT1_S6_PKT2_PKT3_PT4_21rocsparse_index_base_b.numbered_sgpr, 18
	.set _ZN9rocsparseL19coomvn_atomic_loopsILj256ELj1ElfdddEEvlNS_24const_host_device_scalarIT5_EEPKT1_S6_PKT2_PKT3_PT4_21rocsparse_index_base_b.num_named_barrier, 0
	.set _ZN9rocsparseL19coomvn_atomic_loopsILj256ELj1ElfdddEEvlNS_24const_host_device_scalarIT5_EEPKT1_S6_PKT2_PKT3_PT4_21rocsparse_index_base_b.private_seg_size, 0
	.set _ZN9rocsparseL19coomvn_atomic_loopsILj256ELj1ElfdddEEvlNS_24const_host_device_scalarIT5_EEPKT1_S6_PKT2_PKT3_PT4_21rocsparse_index_base_b.uses_vcc, 1
	.set _ZN9rocsparseL19coomvn_atomic_loopsILj256ELj1ElfdddEEvlNS_24const_host_device_scalarIT5_EEPKT1_S6_PKT2_PKT3_PT4_21rocsparse_index_base_b.uses_flat_scratch, 0
	.set _ZN9rocsparseL19coomvn_atomic_loopsILj256ELj1ElfdddEEvlNS_24const_host_device_scalarIT5_EEPKT1_S6_PKT2_PKT3_PT4_21rocsparse_index_base_b.has_dyn_sized_stack, 0
	.set _ZN9rocsparseL19coomvn_atomic_loopsILj256ELj1ElfdddEEvlNS_24const_host_device_scalarIT5_EEPKT1_S6_PKT2_PKT3_PT4_21rocsparse_index_base_b.has_recursion, 0
	.set _ZN9rocsparseL19coomvn_atomic_loopsILj256ELj1ElfdddEEvlNS_24const_host_device_scalarIT5_EEPKT1_S6_PKT2_PKT3_PT4_21rocsparse_index_base_b.has_indirect_call, 0
	.section	.AMDGPU.csdata,"",@progbits
; Kernel info:
; codeLenInByte = 1352
; TotalNumSgprs: 22
; NumVgprs: 15
; ScratchSize: 0
; MemoryBound: 0
; FloatMode: 240
; IeeeMode: 1
; LDSByteSize: 4096 bytes/workgroup (compile time only)
; SGPRBlocks: 2
; VGPRBlocks: 3
; NumSGPRsForWavesPerEU: 22
; NumVGPRsForWavesPerEU: 15
; Occupancy: 10
; WaveLimiterHint : 1
; COMPUTE_PGM_RSRC2:SCRATCH_EN: 0
; COMPUTE_PGM_RSRC2:USER_SGPR: 6
; COMPUTE_PGM_RSRC2:TRAP_HANDLER: 0
; COMPUTE_PGM_RSRC2:TGID_X_EN: 1
; COMPUTE_PGM_RSRC2:TGID_Y_EN: 0
; COMPUTE_PGM_RSRC2:TGID_Z_EN: 0
; COMPUTE_PGM_RSRC2:TIDIG_COMP_CNT: 0
	.section	.text._ZN9rocsparseL19coomvn_atomic_loopsILj256ELj2ElfdddEEvlNS_24const_host_device_scalarIT5_EEPKT1_S6_PKT2_PKT3_PT4_21rocsparse_index_base_b,"axG",@progbits,_ZN9rocsparseL19coomvn_atomic_loopsILj256ELj2ElfdddEEvlNS_24const_host_device_scalarIT5_EEPKT1_S6_PKT2_PKT3_PT4_21rocsparse_index_base_b,comdat
	.globl	_ZN9rocsparseL19coomvn_atomic_loopsILj256ELj2ElfdddEEvlNS_24const_host_device_scalarIT5_EEPKT1_S6_PKT2_PKT3_PT4_21rocsparse_index_base_b ; -- Begin function _ZN9rocsparseL19coomvn_atomic_loopsILj256ELj2ElfdddEEvlNS_24const_host_device_scalarIT5_EEPKT1_S6_PKT2_PKT3_PT4_21rocsparse_index_base_b
	.p2align	8
	.type	_ZN9rocsparseL19coomvn_atomic_loopsILj256ELj2ElfdddEEvlNS_24const_host_device_scalarIT5_EEPKT1_S6_PKT2_PKT3_PT4_21rocsparse_index_base_b,@function
_ZN9rocsparseL19coomvn_atomic_loopsILj256ELj2ElfdddEEvlNS_24const_host_device_scalarIT5_EEPKT1_S6_PKT2_PKT3_PT4_21rocsparse_index_base_b: ; @_ZN9rocsparseL19coomvn_atomic_loopsILj256ELj2ElfdddEEvlNS_24const_host_device_scalarIT5_EEPKT1_S6_PKT2_PKT3_PT4_21rocsparse_index_base_b
; %bb.0:
	s_load_dwordx2 s[34:35], s[4:5], 0x38
	s_load_dwordx4 s[36:39], s[4:5], 0x0
	s_waitcnt lgkmcnt(0)
	s_bitcmp1_b32 s35, 0
	s_cselect_b64 s[0:1], -1, 0
	v_mov_b32_e32 v5, s38
	s_and_b64 vcc, exec, s[0:1]
	v_mov_b32_e32 v6, s39
	s_cbranch_vccnz .LBB99_2
; %bb.1:
	v_mov_b32_e32 v1, s38
	v_mov_b32_e32 v2, s39
	flat_load_dwordx2 v[5:6], v[1:2]
.LBB99_2:
	s_waitcnt vmcnt(0) lgkmcnt(0)
	v_cmp_neq_f64_e32 vcc, 0, v[5:6]
	s_and_saveexec_b64 s[0:1], vcc
	s_cbranch_execz .LBB99_95
; %bb.3:
	s_load_dwordx8 s[24:31], s[4:5], 0x10
	v_lshl_or_b32 v7, s6, 9, v0
	v_mov_b32_e32 v8, 0
	v_cmp_gt_i64_e32 vcc, s[36:37], v[7:8]
	v_mov_b32_e32 v3, -1
	v_mov_b32_e32 v1, 0
	v_lshlrev_b64 v[9:10], 3, v[7:8]
	v_lshlrev_b64 v[13:14], 2, v[7:8]
	v_mov_b32_e32 v4, -1
	v_mov_b32_e32 v2, 0
	s_and_saveexec_b64 s[0:1], vcc
	s_cbranch_execz .LBB99_5
; %bb.4:
	s_waitcnt lgkmcnt(0)
	v_mov_b32_e32 v2, s27
	v_add_co_u32_e32 v1, vcc, s26, v9
	v_addc_co_u32_e32 v2, vcc, v2, v10, vcc
	global_load_dwordx2 v[1:2], v[1:2], off glc slc
	v_mov_b32_e32 v4, s29
	v_add_co_u32_e32 v3, vcc, s28, v13
	v_addc_co_u32_e32 v4, vcc, v4, v14, vcc
	global_load_dword v12, v[3:4], off glc slc
	v_mov_b32_e32 v11, s31
	v_mov_b32_e32 v8, s25
	s_waitcnt vmcnt(1)
	v_subrev_co_u32_e32 v1, vcc, s34, v1
	v_subbrev_co_u32_e32 v2, vcc, 0, v2, vcc
	v_lshlrev_b64 v[1:2], 3, v[1:2]
	v_add_co_u32_e32 v1, vcc, s30, v1
	v_addc_co_u32_e32 v2, vcc, v11, v2, vcc
	global_load_dwordx2 v[1:2], v[1:2], off
	v_add_co_u32_e32 v3, vcc, s24, v9
	v_addc_co_u32_e32 v4, vcc, v8, v10, vcc
	global_load_dwordx2 v[3:4], v[3:4], off glc slc
	s_waitcnt vmcnt(2)
	v_cvt_f64_f32_e32 v[11:12], v12
	s_waitcnt vmcnt(1)
	v_mul_f64 v[1:2], v[1:2], v[11:12]
	s_waitcnt vmcnt(0)
	v_subrev_co_u32_e32 v3, vcc, s34, v3
	v_subbrev_co_u32_e32 v4, vcc, 0, v4, vcc
.LBB99_5:
	s_or_b64 exec, exec, s[0:1]
	v_lshlrev_b32_e32 v17, 3, v0
	v_or_b32_e32 v18, 0x800, v17
	v_cmp_eq_u32_e64 s[18:19], 0, v0
	v_cmp_ne_u32_e64 s[0:1], 0, v0
	v_add_u32_e32 v19, -8, v17
	ds_write2st64_b64 v17, v[3:4], v[1:2] offset1:4
	s_waitcnt lgkmcnt(0)
	s_barrier
	s_and_saveexec_b64 s[2:3], s[0:1]
	s_cbranch_execz .LBB99_9
; %bb.6:
	ds_read_b64 v[11:12], v19
	s_waitcnt lgkmcnt(0)
	v_cmp_eq_u64_e32 vcc, v[3:4], v[11:12]
	s_and_saveexec_b64 s[6:7], vcc
	s_cbranch_execz .LBB99_8
; %bb.7:
	v_add_u32_e32 v8, -8, v18
	ds_read_b64 v[11:12], v8
	s_waitcnt lgkmcnt(0)
	v_add_f64 v[1:2], v[1:2], v[11:12]
.LBB99_8:
	s_or_b64 exec, exec, s[6:7]
.LBB99_9:
	s_or_b64 exec, exec, s[2:3]
	v_cmp_lt_u32_e64 s[2:3], 1, v0
	v_add_u32_e32 v20, -16, v17
	s_barrier
	ds_write_b64 v18, v[1:2]
	s_waitcnt lgkmcnt(0)
	s_barrier
	s_and_saveexec_b64 s[6:7], s[2:3]
	s_cbranch_execz .LBB99_13
; %bb.10:
	ds_read_b64 v[11:12], v20
	s_waitcnt lgkmcnt(0)
	v_cmp_eq_u64_e32 vcc, v[3:4], v[11:12]
	s_and_saveexec_b64 s[8:9], vcc
	s_cbranch_execz .LBB99_12
; %bb.11:
	v_add_u32_e32 v8, -16, v18
	ds_read_b64 v[11:12], v8
	s_waitcnt lgkmcnt(0)
	v_add_f64 v[1:2], v[1:2], v[11:12]
.LBB99_12:
	s_or_b64 exec, exec, s[8:9]
.LBB99_13:
	s_or_b64 exec, exec, s[6:7]
	v_cmp_lt_u32_e64 s[20:21], 3, v0
	v_subrev_u32_e32 v21, 32, v17
	s_barrier
	ds_write_b64 v18, v[1:2]
	s_waitcnt lgkmcnt(0)
	s_barrier
	s_and_saveexec_b64 s[6:7], s[20:21]
	s_cbranch_execz .LBB99_17
; %bb.14:
	ds_read_b64 v[11:12], v21
	s_waitcnt lgkmcnt(0)
	v_cmp_eq_u64_e32 vcc, v[3:4], v[11:12]
	s_and_saveexec_b64 s[8:9], vcc
	s_cbranch_execz .LBB99_16
; %bb.15:
	v_subrev_u32_e32 v8, 32, v18
	ds_read_b64 v[11:12], v8
	s_waitcnt lgkmcnt(0)
	v_add_f64 v[1:2], v[1:2], v[11:12]
.LBB99_16:
	s_or_b64 exec, exec, s[8:9]
.LBB99_17:
	s_or_b64 exec, exec, s[6:7]
	v_cmp_lt_u32_e64 s[6:7], 7, v0
	v_subrev_u32_e32 v22, 64, v17
	s_barrier
	ds_write_b64 v18, v[1:2]
	s_waitcnt lgkmcnt(0)
	s_barrier
	s_and_saveexec_b64 s[8:9], s[6:7]
	s_cbranch_execz .LBB99_21
; %bb.18:
	ds_read_b64 v[11:12], v22
	s_waitcnt lgkmcnt(0)
	v_cmp_eq_u64_e32 vcc, v[3:4], v[11:12]
	s_and_saveexec_b64 s[10:11], vcc
	s_cbranch_execz .LBB99_20
; %bb.19:
	v_subrev_u32_e32 v8, 64, v18
	ds_read_b64 v[11:12], v8
	s_waitcnt lgkmcnt(0)
	v_add_f64 v[1:2], v[1:2], v[11:12]
.LBB99_20:
	s_or_b64 exec, exec, s[10:11]
.LBB99_21:
	s_or_b64 exec, exec, s[8:9]
	v_cmp_lt_u32_e64 s[8:9], 15, v0
	s_barrier
	ds_write_b64 v18, v[1:2]
	s_waitcnt lgkmcnt(0)
	s_barrier
	s_and_saveexec_b64 s[10:11], s[8:9]
	s_cbranch_execz .LBB99_25
; %bb.22:
	v_add_u32_e32 v8, 0xffffff80, v17
	ds_read_b64 v[11:12], v8
	s_waitcnt lgkmcnt(0)
	v_cmp_eq_u64_e32 vcc, v[3:4], v[11:12]
	s_and_saveexec_b64 s[12:13], vcc
	s_cbranch_execz .LBB99_24
; %bb.23:
	v_add_u32_e32 v8, 0xffffff80, v18
	ds_read_b64 v[11:12], v8
	s_waitcnt lgkmcnt(0)
	v_add_f64 v[1:2], v[1:2], v[11:12]
.LBB99_24:
	s_or_b64 exec, exec, s[12:13]
.LBB99_25:
	s_or_b64 exec, exec, s[10:11]
	v_cmp_lt_u32_e64 s[10:11], 31, v0
	s_barrier
	ds_write_b64 v18, v[1:2]
	s_waitcnt lgkmcnt(0)
	s_barrier
	s_and_saveexec_b64 s[12:13], s[10:11]
	s_cbranch_execz .LBB99_29
; %bb.26:
	v_add_u32_e32 v8, 0xffffff00, v17
	ds_read_b64 v[11:12], v8
	s_waitcnt lgkmcnt(0)
	v_cmp_eq_u64_e32 vcc, v[3:4], v[11:12]
	s_and_saveexec_b64 s[14:15], vcc
	s_cbranch_execz .LBB99_28
; %bb.27:
	v_add_u32_e32 v8, 0xffffff00, v18
	ds_read_b64 v[11:12], v8
	s_waitcnt lgkmcnt(0)
	v_add_f64 v[1:2], v[1:2], v[11:12]
.LBB99_28:
	s_or_b64 exec, exec, s[14:15]
.LBB99_29:
	;; [unrolled: 23-line block ×3, first 2 shown]
	s_or_b64 exec, exec, s[14:15]
	s_load_dwordx2 s[22:23], s[4:5], 0x30
	s_movk_i32 s4, 0x7f
	v_cmp_lt_u32_e64 s[14:15], s4, v0
	s_waitcnt lgkmcnt(0)
	s_barrier
	ds_write_b64 v18, v[1:2]
	s_waitcnt lgkmcnt(0)
	s_barrier
	s_and_saveexec_b64 s[4:5], s[14:15]
	s_cbranch_execz .LBB99_37
; %bb.34:
	v_add_u32_e32 v8, 0xfffffc00, v17
	ds_read_b64 v[11:12], v8
	s_waitcnt lgkmcnt(0)
	v_cmp_eq_u64_e32 vcc, v[3:4], v[11:12]
	s_and_saveexec_b64 s[16:17], vcc
	s_cbranch_execz .LBB99_36
; %bb.35:
	v_add_u32_e32 v8, 0xfffffc00, v18
	ds_read_b64 v[11:12], v8
	s_waitcnt lgkmcnt(0)
	v_add_f64 v[1:2], v[1:2], v[11:12]
.LBB99_36:
	s_or_b64 exec, exec, s[16:17]
.LBB99_37:
	s_or_b64 exec, exec, s[4:5]
	s_movk_i32 s4, 0xff
	v_cmp_gt_u32_e64 s[16:17], s4, v0
	s_barrier
	ds_write_b64 v18, v[1:2]
	s_waitcnt lgkmcnt(0)
	s_barrier
	s_and_saveexec_b64 s[38:39], s[16:17]
	s_cbranch_execz .LBB99_41
; %bb.38:
	ds_read_b64 v[11:12], v17 offset:8
	v_cmp_lt_i64_e64 s[4:5], -1, v[3:4]
	s_waitcnt lgkmcnt(0)
	v_cmp_ne_u64_e32 vcc, v[3:4], v[11:12]
	s_and_b64 s[4:5], s[4:5], vcc
	s_and_b64 exec, exec, s[4:5]
	s_cbranch_execz .LBB99_41
; %bb.39:
	v_lshlrev_b64 v[3:4], 3, v[3:4]
	v_mov_b32_e32 v8, s23
	v_add_co_u32_e32 v11, vcc, s22, v3
	v_addc_co_u32_e32 v12, vcc, v8, v4, vcc
	global_load_dwordx2 v[3:4], v[11:12], off
	v_mul_f64 v[15:16], v[5:6], v[1:2]
	s_mov_b64 s[4:5], 0
.LBB99_40:                              ; =>This Inner Loop Header: Depth=1
	s_waitcnt vmcnt(0)
	v_add_f64 v[1:2], v[3:4], v[15:16]
	global_atomic_cmpswap_x2 v[1:2], v[11:12], v[1:4], off glc
	s_waitcnt vmcnt(0)
	v_cmp_eq_u64_e32 vcc, v[1:2], v[3:4]
	v_mov_b32_e32 v4, v2
	s_or_b64 s[4:5], vcc, s[4:5]
	v_mov_b32_e32 v3, v1
	s_andn2_b64 exec, exec, s[4:5]
	s_cbranch_execnz .LBB99_40
.LBB99_41:
	s_or_b64 exec, exec, s[38:39]
	v_add_co_u32_e32 v1, vcc, 0x100, v7
	v_addc_co_u32_e64 v2, s[4:5], 0, 0, vcc
	v_cmp_gt_i64_e32 vcc, s[36:37], v[1:2]
	v_mov_b32_e32 v11, -1
	v_mov_b32_e32 v7, 0
	v_mov_b32_e32 v12, -1
	v_mov_b32_e32 v8, 0
	s_and_saveexec_b64 s[4:5], vcc
	s_cbranch_execz .LBB99_43
; %bb.42:
	v_mov_b32_e32 v2, s27
	v_add_co_u32_e32 v1, vcc, s26, v9
	v_addc_co_u32_e32 v2, vcc, v2, v10, vcc
	global_load_dwordx2 v[1:2], v[1:2], off offset:2048 glc slc
	v_mov_b32_e32 v4, s29
	v_add_co_u32_e32 v3, vcc, s28, v13
	v_addc_co_u32_e32 v4, vcc, v4, v14, vcc
	global_load_dword v11, v[3:4], off offset:1024 glc slc
	v_mov_b32_e32 v8, s31
	v_mov_b32_e32 v7, s25
	s_waitcnt vmcnt(1)
	v_subrev_co_u32_e32 v1, vcc, s34, v1
	v_subbrev_co_u32_e32 v2, vcc, 0, v2, vcc
	v_lshlrev_b64 v[1:2], 3, v[1:2]
	v_add_co_u32_e32 v1, vcc, s30, v1
	v_addc_co_u32_e32 v2, vcc, v8, v2, vcc
	global_load_dwordx2 v[1:2], v[1:2], off
	v_add_co_u32_e32 v3, vcc, s24, v9
	v_addc_co_u32_e32 v4, vcc, v7, v10, vcc
	global_load_dwordx2 v[3:4], v[3:4], off offset:2048 glc slc
	s_waitcnt vmcnt(2)
	v_cvt_f64_f32_e32 v[7:8], v11
	s_waitcnt vmcnt(1)
	v_mul_f64 v[7:8], v[1:2], v[7:8]
	s_waitcnt vmcnt(0)
	v_subrev_co_u32_e32 v11, vcc, s34, v3
	v_subbrev_co_u32_e32 v12, vcc, 0, v4, vcc
.LBB99_43:
	s_or_b64 exec, exec, s[4:5]
	s_and_saveexec_b64 s[4:5], s[18:19]
	s_cbranch_execz .LBB99_56
; %bb.44:
	v_mov_b32_e32 v1, 0
	ds_read_b64 v[1:2], v1 offset:2040
	s_waitcnt lgkmcnt(0)
	v_cmp_ne_u64_e32 vcc, v[11:12], v[1:2]
	s_and_saveexec_b64 s[18:19], vcc
	s_xor_b64 s[18:19], exec, s[18:19]
	s_cbranch_execz .LBB99_53
; %bb.45:
	v_cmp_gt_i64_e32 vcc, 0, v[1:2]
	s_cbranch_vccnz .LBB99_53
; %bb.46:
	v_mov_b32_e32 v3, 0
	ds_read_b64 v[3:4], v3 offset:4088
	v_mov_b32_e32 v9, 0
	s_mov_b64 s[24:25], exec
	v_bfrev_b32_e32 v10, 1
	s_waitcnt lgkmcnt(0)
	v_mul_f64 v[3:4], v[5:6], v[3:4]
.LBB99_47:                              ; =>This Inner Loop Header: Depth=1
	s_ff1_i32_b64 s28, s[24:25]
	v_readlane_b32 s27, v4, s28
	v_readlane_b32 s26, v3, s28
	v_add_f64 v[9:10], v[9:10], s[26:27]
	s_lshl_b64 s[26:27], 1, s28
	s_andn2_b64 s[24:25], s[24:25], s[26:27]
	s_cmp_lg_u64 s[24:25], 0
	s_cbranch_scc1 .LBB99_47
; %bb.48:
	v_mbcnt_lo_u32_b32 v3, exec_lo, 0
	v_mbcnt_hi_u32_b32 v3, exec_hi, v3
	v_cmp_eq_u32_e32 vcc, 0, v3
	s_and_saveexec_b64 s[24:25], vcc
	s_xor_b64 s[24:25], exec, s[24:25]
	s_cbranch_execz .LBB99_52
; %bb.49:
	v_lshlrev_b64 v[1:2], 3, v[1:2]
	v_mov_b32_e32 v3, s23
	v_add_co_u32_e32 v13, vcc, s22, v1
	v_addc_co_u32_e32 v14, vcc, v3, v2, vcc
	global_load_dwordx2 v[3:4], v[13:14], off
	s_mov_b64 s[26:27], 0
.LBB99_50:                              ; =>This Inner Loop Header: Depth=1
	s_waitcnt vmcnt(0)
	v_add_f64 v[1:2], v[3:4], v[9:10]
	global_atomic_cmpswap_x2 v[1:2], v[13:14], v[1:4], off glc
	s_waitcnt vmcnt(0)
	v_cmp_eq_u64_e32 vcc, v[1:2], v[3:4]
	v_mov_b32_e32 v4, v2
	s_or_b64 s[26:27], vcc, s[26:27]
	v_mov_b32_e32 v3, v1
	s_andn2_b64 exec, exec, s[26:27]
	s_cbranch_execnz .LBB99_50
; %bb.51:
	s_or_b64 exec, exec, s[26:27]
.LBB99_52:
	s_or_b64 exec, exec, s[24:25]
.LBB99_53:
	s_andn2_saveexec_b64 s[18:19], s[18:19]
	s_cbranch_execz .LBB99_55
; %bb.54:
	v_mov_b32_e32 v1, 0
	ds_read_b64 v[1:2], v1 offset:4088
	s_waitcnt lgkmcnt(0)
	v_add_f64 v[7:8], v[7:8], v[1:2]
.LBB99_55:
	s_or_b64 exec, exec, s[18:19]
.LBB99_56:
	s_or_b64 exec, exec, s[4:5]
	s_barrier
	ds_write_b64 v17, v[11:12]
	ds_write_b64 v18, v[7:8]
	s_waitcnt lgkmcnt(0)
	s_barrier
	s_and_saveexec_b64 s[4:5], s[0:1]
	s_cbranch_execz .LBB99_60
; %bb.57:
	ds_read_b64 v[1:2], v19
	s_waitcnt lgkmcnt(0)
	v_cmp_eq_u64_e32 vcc, v[11:12], v[1:2]
	s_and_saveexec_b64 s[0:1], vcc
	s_cbranch_execz .LBB99_59
; %bb.58:
	v_add_u32_e32 v1, -8, v18
	ds_read_b64 v[1:2], v1
	s_waitcnt lgkmcnt(0)
	v_add_f64 v[7:8], v[7:8], v[1:2]
.LBB99_59:
	s_or_b64 exec, exec, s[0:1]
.LBB99_60:
	s_or_b64 exec, exec, s[4:5]
	s_barrier
	ds_write_b64 v18, v[7:8]
	s_waitcnt lgkmcnt(0)
	s_barrier
	s_and_saveexec_b64 s[0:1], s[2:3]
	s_cbranch_execz .LBB99_64
; %bb.61:
	ds_read_b64 v[1:2], v20
	s_waitcnt lgkmcnt(0)
	v_cmp_eq_u64_e32 vcc, v[11:12], v[1:2]
	s_and_saveexec_b64 s[2:3], vcc
	s_cbranch_execz .LBB99_63
; %bb.62:
	v_add_u32_e32 v1, -16, v18
	ds_read_b64 v[1:2], v1
	s_waitcnt lgkmcnt(0)
	v_add_f64 v[7:8], v[7:8], v[1:2]
.LBB99_63:
	s_or_b64 exec, exec, s[2:3]
.LBB99_64:
	s_or_b64 exec, exec, s[0:1]
	s_barrier
	ds_write_b64 v18, v[7:8]
	s_waitcnt lgkmcnt(0)
	s_barrier
	s_and_saveexec_b64 s[0:1], s[20:21]
	s_cbranch_execz .LBB99_68
; %bb.65:
	ds_read_b64 v[1:2], v21
	s_waitcnt lgkmcnt(0)
	v_cmp_eq_u64_e32 vcc, v[11:12], v[1:2]
	s_and_saveexec_b64 s[2:3], vcc
	s_cbranch_execz .LBB99_67
; %bb.66:
	v_subrev_u32_e32 v1, 32, v18
	ds_read_b64 v[1:2], v1
	s_waitcnt lgkmcnt(0)
	v_add_f64 v[7:8], v[7:8], v[1:2]
.LBB99_67:
	s_or_b64 exec, exec, s[2:3]
.LBB99_68:
	s_or_b64 exec, exec, s[0:1]
	s_barrier
	ds_write_b64 v18, v[7:8]
	s_waitcnt lgkmcnt(0)
	s_barrier
	s_and_saveexec_b64 s[0:1], s[6:7]
	s_cbranch_execz .LBB99_72
; %bb.69:
	ds_read_b64 v[1:2], v22
	s_waitcnt lgkmcnt(0)
	v_cmp_eq_u64_e32 vcc, v[11:12], v[1:2]
	s_and_saveexec_b64 s[2:3], vcc
	s_cbranch_execz .LBB99_71
; %bb.70:
	v_subrev_u32_e32 v1, 64, v18
	ds_read_b64 v[1:2], v1
	s_waitcnt lgkmcnt(0)
	v_add_f64 v[7:8], v[7:8], v[1:2]
.LBB99_71:
	s_or_b64 exec, exec, s[2:3]
.LBB99_72:
	s_or_b64 exec, exec, s[0:1]
	s_barrier
	ds_write_b64 v18, v[7:8]
	s_waitcnt lgkmcnt(0)
	s_barrier
	s_and_saveexec_b64 s[0:1], s[8:9]
	s_cbranch_execz .LBB99_76
; %bb.73:
	v_add_u32_e32 v1, 0xffffff80, v17
	ds_read_b64 v[1:2], v1
	s_waitcnt lgkmcnt(0)
	v_cmp_eq_u64_e32 vcc, v[11:12], v[1:2]
	s_and_saveexec_b64 s[2:3], vcc
	s_cbranch_execz .LBB99_75
; %bb.74:
	v_add_u32_e32 v1, 0xffffff80, v18
	ds_read_b64 v[1:2], v1
	s_waitcnt lgkmcnt(0)
	v_add_f64 v[7:8], v[7:8], v[1:2]
.LBB99_75:
	s_or_b64 exec, exec, s[2:3]
.LBB99_76:
	s_or_b64 exec, exec, s[0:1]
	s_barrier
	ds_write_b64 v18, v[7:8]
	s_waitcnt lgkmcnt(0)
	s_barrier
	s_and_saveexec_b64 s[0:1], s[10:11]
	s_cbranch_execz .LBB99_80
; %bb.77:
	v_add_u32_e32 v1, 0xffffff00, v17
	ds_read_b64 v[1:2], v1
	s_waitcnt lgkmcnt(0)
	v_cmp_eq_u64_e32 vcc, v[11:12], v[1:2]
	s_and_saveexec_b64 s[2:3], vcc
	s_cbranch_execz .LBB99_79
; %bb.78:
	v_add_u32_e32 v1, 0xffffff00, v18
	ds_read_b64 v[1:2], v1
	s_waitcnt lgkmcnt(0)
	v_add_f64 v[7:8], v[7:8], v[1:2]
.LBB99_79:
	s_or_b64 exec, exec, s[2:3]
.LBB99_80:
	;; [unrolled: 22-line block ×4, first 2 shown]
	s_or_b64 exec, exec, s[0:1]
	s_barrier
	ds_write_b64 v18, v[7:8]
	s_waitcnt lgkmcnt(0)
	s_barrier
	s_and_saveexec_b64 s[2:3], s[16:17]
	s_cbranch_execz .LBB99_92
; %bb.89:
	ds_read_b64 v[1:2], v17 offset:8
	v_cmp_lt_i64_e64 s[0:1], -1, v[11:12]
	s_waitcnt lgkmcnt(0)
	v_cmp_ne_u64_e32 vcc, v[11:12], v[1:2]
	s_and_b64 s[0:1], s[0:1], vcc
	s_and_b64 exec, exec, s[0:1]
	s_cbranch_execz .LBB99_92
; %bb.90:
	v_lshlrev_b64 v[1:2], 3, v[11:12]
	v_mov_b32_e32 v3, s23
	v_add_co_u32_e32 v9, vcc, s22, v1
	v_addc_co_u32_e32 v10, vcc, v3, v2, vcc
	global_load_dwordx2 v[3:4], v[9:10], off
	v_mul_f64 v[13:14], v[5:6], v[7:8]
	s_mov_b64 s[0:1], 0
.LBB99_91:                              ; =>This Inner Loop Header: Depth=1
	s_waitcnt vmcnt(0)
	v_add_f64 v[1:2], v[3:4], v[13:14]
	global_atomic_cmpswap_x2 v[1:2], v[9:10], v[1:4], off glc
	s_waitcnt vmcnt(0)
	v_cmp_eq_u64_e32 vcc, v[1:2], v[3:4]
	v_mov_b32_e32 v4, v2
	s_or_b64 s[0:1], vcc, s[0:1]
	v_mov_b32_e32 v3, v1
	s_andn2_b64 exec, exec, s[0:1]
	s_cbranch_execnz .LBB99_91
.LBB99_92:
	s_or_b64 exec, exec, s[2:3]
	s_movk_i32 s0, 0xff
	v_cmp_lt_i64_e32 vcc, -1, v[11:12]
	v_cmp_eq_u32_e64 s[0:1], s0, v0
	s_and_b64 s[0:1], s[0:1], vcc
	s_and_b64 exec, exec, s[0:1]
	s_cbranch_execz .LBB99_95
; %bb.93:
	v_lshlrev_b64 v[0:1], 3, v[11:12]
	v_mov_b32_e32 v2, s23
	v_add_co_u32_e32 v9, vcc, s22, v0
	v_addc_co_u32_e32 v10, vcc, v2, v1, vcc
	global_load_dwordx2 v[2:3], v[9:10], off
	v_mul_f64 v[4:5], v[5:6], v[7:8]
	s_mov_b64 s[0:1], 0
.LBB99_94:                              ; =>This Inner Loop Header: Depth=1
	s_waitcnt vmcnt(0)
	v_add_f64 v[0:1], v[2:3], v[4:5]
	global_atomic_cmpswap_x2 v[0:1], v[9:10], v[0:3], off glc
	s_waitcnt vmcnt(0)
	v_cmp_eq_u64_e32 vcc, v[0:1], v[2:3]
	v_mov_b32_e32 v3, v1
	s_or_b64 s[0:1], vcc, s[0:1]
	v_mov_b32_e32 v2, v0
	s_andn2_b64 exec, exec, s[0:1]
	s_cbranch_execnz .LBB99_94
.LBB99_95:
	s_endpgm
	.section	.rodata,"a",@progbits
	.p2align	6, 0x0
	.amdhsa_kernel _ZN9rocsparseL19coomvn_atomic_loopsILj256ELj2ElfdddEEvlNS_24const_host_device_scalarIT5_EEPKT1_S6_PKT2_PKT3_PT4_21rocsparse_index_base_b
		.amdhsa_group_segment_fixed_size 4096
		.amdhsa_private_segment_fixed_size 0
		.amdhsa_kernarg_size 64
		.amdhsa_user_sgpr_count 6
		.amdhsa_user_sgpr_private_segment_buffer 1
		.amdhsa_user_sgpr_dispatch_ptr 0
		.amdhsa_user_sgpr_queue_ptr 0
		.amdhsa_user_sgpr_kernarg_segment_ptr 1
		.amdhsa_user_sgpr_dispatch_id 0
		.amdhsa_user_sgpr_flat_scratch_init 0
		.amdhsa_user_sgpr_private_segment_size 0
		.amdhsa_uses_dynamic_stack 0
		.amdhsa_system_sgpr_private_segment_wavefront_offset 0
		.amdhsa_system_sgpr_workgroup_id_x 1
		.amdhsa_system_sgpr_workgroup_id_y 0
		.amdhsa_system_sgpr_workgroup_id_z 0
		.amdhsa_system_sgpr_workgroup_info 0
		.amdhsa_system_vgpr_workitem_id 0
		.amdhsa_next_free_vgpr 23
		.amdhsa_next_free_sgpr 40
		.amdhsa_reserve_vcc 1
		.amdhsa_reserve_flat_scratch 0
		.amdhsa_float_round_mode_32 0
		.amdhsa_float_round_mode_16_64 0
		.amdhsa_float_denorm_mode_32 3
		.amdhsa_float_denorm_mode_16_64 3
		.amdhsa_dx10_clamp 1
		.amdhsa_ieee_mode 1
		.amdhsa_fp16_overflow 0
		.amdhsa_exception_fp_ieee_invalid_op 0
		.amdhsa_exception_fp_denorm_src 0
		.amdhsa_exception_fp_ieee_div_zero 0
		.amdhsa_exception_fp_ieee_overflow 0
		.amdhsa_exception_fp_ieee_underflow 0
		.amdhsa_exception_fp_ieee_inexact 0
		.amdhsa_exception_int_div_zero 0
	.end_amdhsa_kernel
	.section	.text._ZN9rocsparseL19coomvn_atomic_loopsILj256ELj2ElfdddEEvlNS_24const_host_device_scalarIT5_EEPKT1_S6_PKT2_PKT3_PT4_21rocsparse_index_base_b,"axG",@progbits,_ZN9rocsparseL19coomvn_atomic_loopsILj256ELj2ElfdddEEvlNS_24const_host_device_scalarIT5_EEPKT1_S6_PKT2_PKT3_PT4_21rocsparse_index_base_b,comdat
.Lfunc_end99:
	.size	_ZN9rocsparseL19coomvn_atomic_loopsILj256ELj2ElfdddEEvlNS_24const_host_device_scalarIT5_EEPKT1_S6_PKT2_PKT3_PT4_21rocsparse_index_base_b, .Lfunc_end99-_ZN9rocsparseL19coomvn_atomic_loopsILj256ELj2ElfdddEEvlNS_24const_host_device_scalarIT5_EEPKT1_S6_PKT2_PKT3_PT4_21rocsparse_index_base_b
                                        ; -- End function
	.set _ZN9rocsparseL19coomvn_atomic_loopsILj256ELj2ElfdddEEvlNS_24const_host_device_scalarIT5_EEPKT1_S6_PKT2_PKT3_PT4_21rocsparse_index_base_b.num_vgpr, 23
	.set _ZN9rocsparseL19coomvn_atomic_loopsILj256ELj2ElfdddEEvlNS_24const_host_device_scalarIT5_EEPKT1_S6_PKT2_PKT3_PT4_21rocsparse_index_base_b.num_agpr, 0
	.set _ZN9rocsparseL19coomvn_atomic_loopsILj256ELj2ElfdddEEvlNS_24const_host_device_scalarIT5_EEPKT1_S6_PKT2_PKT3_PT4_21rocsparse_index_base_b.numbered_sgpr, 40
	.set _ZN9rocsparseL19coomvn_atomic_loopsILj256ELj2ElfdddEEvlNS_24const_host_device_scalarIT5_EEPKT1_S6_PKT2_PKT3_PT4_21rocsparse_index_base_b.num_named_barrier, 0
	.set _ZN9rocsparseL19coomvn_atomic_loopsILj256ELj2ElfdddEEvlNS_24const_host_device_scalarIT5_EEPKT1_S6_PKT2_PKT3_PT4_21rocsparse_index_base_b.private_seg_size, 0
	.set _ZN9rocsparseL19coomvn_atomic_loopsILj256ELj2ElfdddEEvlNS_24const_host_device_scalarIT5_EEPKT1_S6_PKT2_PKT3_PT4_21rocsparse_index_base_b.uses_vcc, 1
	.set _ZN9rocsparseL19coomvn_atomic_loopsILj256ELj2ElfdddEEvlNS_24const_host_device_scalarIT5_EEPKT1_S6_PKT2_PKT3_PT4_21rocsparse_index_base_b.uses_flat_scratch, 0
	.set _ZN9rocsparseL19coomvn_atomic_loopsILj256ELj2ElfdddEEvlNS_24const_host_device_scalarIT5_EEPKT1_S6_PKT2_PKT3_PT4_21rocsparse_index_base_b.has_dyn_sized_stack, 0
	.set _ZN9rocsparseL19coomvn_atomic_loopsILj256ELj2ElfdddEEvlNS_24const_host_device_scalarIT5_EEPKT1_S6_PKT2_PKT3_PT4_21rocsparse_index_base_b.has_recursion, 0
	.set _ZN9rocsparseL19coomvn_atomic_loopsILj256ELj2ElfdddEEvlNS_24const_host_device_scalarIT5_EEPKT1_S6_PKT2_PKT3_PT4_21rocsparse_index_base_b.has_indirect_call, 0
	.section	.AMDGPU.csdata,"",@progbits
; Kernel info:
; codeLenInByte = 2752
; TotalNumSgprs: 44
; NumVgprs: 23
; ScratchSize: 0
; MemoryBound: 0
; FloatMode: 240
; IeeeMode: 1
; LDSByteSize: 4096 bytes/workgroup (compile time only)
; SGPRBlocks: 5
; VGPRBlocks: 5
; NumSGPRsForWavesPerEU: 44
; NumVGPRsForWavesPerEU: 23
; Occupancy: 10
; WaveLimiterHint : 1
; COMPUTE_PGM_RSRC2:SCRATCH_EN: 0
; COMPUTE_PGM_RSRC2:USER_SGPR: 6
; COMPUTE_PGM_RSRC2:TRAP_HANDLER: 0
; COMPUTE_PGM_RSRC2:TGID_X_EN: 1
; COMPUTE_PGM_RSRC2:TGID_Y_EN: 0
; COMPUTE_PGM_RSRC2:TGID_Z_EN: 0
; COMPUTE_PGM_RSRC2:TIDIG_COMP_CNT: 0
	.section	.text._ZN9rocsparseL22coomvn_segmented_loopsILj256Ei21rocsparse_complex_numIfES1_IdES3_S3_EEvlT0_NS_24const_host_device_scalarIT4_EEPKS4_S9_PKT1_PKT2_PT3_PS4_PS6_21rocsparse_index_base_b,"axG",@progbits,_ZN9rocsparseL22coomvn_segmented_loopsILj256Ei21rocsparse_complex_numIfES1_IdES3_S3_EEvlT0_NS_24const_host_device_scalarIT4_EEPKS4_S9_PKT1_PKT2_PT3_PS4_PS6_21rocsparse_index_base_b,comdat
	.globl	_ZN9rocsparseL22coomvn_segmented_loopsILj256Ei21rocsparse_complex_numIfES1_IdES3_S3_EEvlT0_NS_24const_host_device_scalarIT4_EEPKS4_S9_PKT1_PKT2_PT3_PS4_PS6_21rocsparse_index_base_b ; -- Begin function _ZN9rocsparseL22coomvn_segmented_loopsILj256Ei21rocsparse_complex_numIfES1_IdES3_S3_EEvlT0_NS_24const_host_device_scalarIT4_EEPKS4_S9_PKT1_PKT2_PT3_PS4_PS6_21rocsparse_index_base_b
	.p2align	8
	.type	_ZN9rocsparseL22coomvn_segmented_loopsILj256Ei21rocsparse_complex_numIfES1_IdES3_S3_EEvlT0_NS_24const_host_device_scalarIT4_EEPKS4_S9_PKT1_PKT2_PT3_PS4_PS6_21rocsparse_index_base_b,@function
_ZN9rocsparseL22coomvn_segmented_loopsILj256Ei21rocsparse_complex_numIfES1_IdES3_S3_EEvlT0_NS_24const_host_device_scalarIT4_EEPKS4_S9_PKT1_PKT2_PT3_PS4_PS6_21rocsparse_index_base_b: ; @_ZN9rocsparseL22coomvn_segmented_loopsILj256Ei21rocsparse_complex_numIfES1_IdES3_S3_EEvlT0_NS_24const_host_device_scalarIT4_EEPKS4_S9_PKT1_PKT2_PT3_PS4_PS6_21rocsparse_index_base_b
; %bb.0:
	s_load_dwordx2 s[28:29], s[4:5], 0x58
	s_load_dwordx2 s[0:1], s[4:5], 0x10
	s_add_u32 s2, s4, 16
	s_addc_u32 s3, s5, 0
	s_waitcnt lgkmcnt(0)
	s_bitcmp1_b32 s29, 0
	s_cselect_b32 s1, s3, s1
	s_cselect_b32 s0, s2, s0
	v_mov_b32_e32 v1, s0
	v_mov_b32_e32 v2, s1
	flat_load_dwordx4 v[1:4], v[1:2]
	s_waitcnt vmcnt(0) lgkmcnt(0)
	v_cmp_neq_f64_e32 vcc, 0, v[1:2]
	v_cmp_neq_f64_e64 s[0:1], 0, v[3:4]
	s_or_b64 s[0:1], vcc, s[0:1]
	s_and_saveexec_b64 s[2:3], s[0:1]
	s_cbranch_execz .LBB100_87
; %bb.1:
	s_load_dword s33, s[4:5], 0x8
	s_load_dwordx2 s[30:31], s[4:5], 0x0
	s_load_dwordx8 s[36:43], s[4:5], 0x20
	v_mov_b32_e32 v5, 0
	v_mov_b32_e32 v18, 0
	s_waitcnt lgkmcnt(0)
	s_mul_i32 s0, s6, s33
	v_lshl_or_b32 v17, s0, 8, v0
	v_mov_b32_e32 v6, 0
	v_cmp_gt_i64_e32 vcc, s[30:31], v[17:18]
	v_lshlrev_b64 v[11:12], 2, v[17:18]
	v_lshlrev_b64 v[13:14], 3, v[17:18]
	v_mov_b32_e32 v8, v6
	v_mov_b32_e32 v9, -1
	v_mov_b32_e32 v7, v5
	s_and_saveexec_b64 s[0:1], vcc
	s_cbranch_execz .LBB100_3
; %bb.2:
	v_mov_b32_e32 v6, s39
	v_add_co_u32_e32 v5, vcc, s38, v11
	v_addc_co_u32_e32 v6, vcc, v6, v12, vcc
	global_load_dword v5, v[5:6], off glc slc
	v_mov_b32_e32 v7, s41
	v_add_co_u32_e32 v6, vcc, s40, v13
	v_addc_co_u32_e32 v7, vcc, v7, v14, vcc
	global_load_dwordx2 v[15:16], v[6:7], off glc slc
	v_mov_b32_e32 v8, s43
	s_ashr_i32 s29, s28, 31
	s_lshl_b64 s[2:3], s[28:29], 4
	v_mov_b32_e32 v7, s3
	s_waitcnt vmcnt(1)
	v_ashrrev_i32_e32 v6, 31, v5
	v_lshlrev_b64 v[5:6], 4, v[5:6]
	v_add_co_u32_e32 v5, vcc, s42, v5
	v_addc_co_u32_e32 v6, vcc, v8, v6, vcc
	v_subrev_co_u32_e32 v5, vcc, s2, v5
	v_subb_co_u32_e32 v6, vcc, v6, v7, vcc
	global_load_dwordx4 v[7:10], v[5:6], off
	v_mov_b32_e32 v6, s37
	v_add_co_u32_e32 v5, vcc, s36, v11
	v_addc_co_u32_e32 v6, vcc, v6, v12, vcc
	global_load_dword v20, v[5:6], off glc slc
	s_waitcnt vmcnt(2)
	v_cvt_f64_f32_e32 v[18:19], v16
	v_cvt_f64_f32_e32 v[5:6], v15
	s_waitcnt vmcnt(1)
	v_mul_f64 v[15:16], v[9:10], -v[18:19]
	v_mul_f64 v[9:10], v[9:10], v[5:6]
	v_fma_f64 v[5:6], v[5:6], v[7:8], v[15:16]
	v_fma_f64 v[7:8], v[18:19], v[7:8], v[9:10]
	s_waitcnt vmcnt(0)
	v_subrev_u32_e32 v9, s28, v20
.LBB100_3:
	s_or_b64 exec, exec, s[0:1]
	v_lshlrev_b32_e32 v10, 2, v0
	v_or_b32_e32 v19, 0x1000, v10
	v_lshlrev_b32_e32 v20, 4, v0
	v_cmp_eq_u32_e64 s[0:1], 0, v0
	v_cmp_ne_u32_e64 s[2:3], 0, v0
	v_add_u32_e32 v21, -4, v19
	ds_write_b32 v10, v9 offset:4096
	ds_write_b128 v20, v[5:8]
	s_waitcnt lgkmcnt(0)
	s_barrier
	s_and_saveexec_b64 s[8:9], s[2:3]
	s_cbranch_execz .LBB100_7
; %bb.4:
	ds_read_b32 v10, v21
	s_waitcnt lgkmcnt(0)
	v_cmp_eq_u32_e32 vcc, v9, v10
	s_and_saveexec_b64 s[10:11], vcc
	s_cbranch_execz .LBB100_6
; %bb.5:
	v_add_u32_e32 v10, -16, v20
	ds_read_b128 v[22:25], v10
	s_waitcnt lgkmcnt(0)
	v_add_f64 v[5:6], v[5:6], v[22:23]
	v_add_f64 v[7:8], v[7:8], v[24:25]
.LBB100_6:
	s_or_b64 exec, exec, s[10:11]
.LBB100_7:
	s_or_b64 exec, exec, s[8:9]
	v_cmp_lt_u32_e64 s[22:23], 1, v0
	v_add_u32_e32 v22, -8, v19
	s_barrier
	ds_write_b128 v20, v[5:8]
	s_waitcnt lgkmcnt(0)
	s_barrier
	s_and_saveexec_b64 s[8:9], s[22:23]
	s_cbranch_execz .LBB100_11
; %bb.8:
	ds_read_b32 v10, v22
	s_waitcnt lgkmcnt(0)
	v_cmp_eq_u32_e32 vcc, v9, v10
	s_and_saveexec_b64 s[10:11], vcc
	s_cbranch_execz .LBB100_10
; %bb.9:
	v_subrev_u32_e32 v10, 32, v20
	ds_read_b128 v[23:26], v10
	s_waitcnt lgkmcnt(0)
	v_add_f64 v[5:6], v[5:6], v[23:24]
	v_add_f64 v[7:8], v[7:8], v[25:26]
.LBB100_10:
	s_or_b64 exec, exec, s[10:11]
.LBB100_11:
	s_or_b64 exec, exec, s[8:9]
	v_cmp_lt_u32_e64 s[8:9], 3, v0
	v_add_u32_e32 v23, -16, v19
	s_barrier
	ds_write_b128 v20, v[5:8]
	s_waitcnt lgkmcnt(0)
	s_barrier
	s_and_saveexec_b64 s[10:11], s[8:9]
	s_cbranch_execz .LBB100_15
; %bb.12:
	ds_read_b32 v10, v23
	s_waitcnt lgkmcnt(0)
	v_cmp_eq_u32_e32 vcc, v9, v10
	s_and_saveexec_b64 s[12:13], vcc
	s_cbranch_execz .LBB100_14
; %bb.13:
	v_subrev_u32_e32 v10, 64, v20
	ds_read_b128 v[24:27], v10
	s_waitcnt lgkmcnt(0)
	v_add_f64 v[5:6], v[5:6], v[24:25]
	v_add_f64 v[7:8], v[7:8], v[26:27]
.LBB100_14:
	s_or_b64 exec, exec, s[12:13]
.LBB100_15:
	s_or_b64 exec, exec, s[10:11]
	v_cmp_lt_u32_e64 s[10:11], 7, v0
	v_subrev_u32_e32 v24, 32, v19
	s_barrier
	ds_write_b128 v20, v[5:8]
	s_waitcnt lgkmcnt(0)
	s_barrier
	s_and_saveexec_b64 s[12:13], s[10:11]
	s_cbranch_execz .LBB100_19
; %bb.16:
	ds_read_b32 v10, v24
	s_waitcnt lgkmcnt(0)
	v_cmp_eq_u32_e32 vcc, v9, v10
	s_and_saveexec_b64 s[14:15], vcc
	s_cbranch_execz .LBB100_18
; %bb.17:
	v_add_u32_e32 v10, 0xffffff80, v20
	ds_read_b128 v[25:28], v10
	s_waitcnt lgkmcnt(0)
	v_add_f64 v[5:6], v[5:6], v[25:26]
	v_add_f64 v[7:8], v[7:8], v[27:28]
.LBB100_18:
	s_or_b64 exec, exec, s[14:15]
.LBB100_19:
	s_or_b64 exec, exec, s[12:13]
	v_cmp_lt_u32_e64 s[12:13], 15, v0
	v_subrev_u32_e32 v25, 64, v19
	s_barrier
	ds_write_b128 v20, v[5:8]
	s_waitcnt lgkmcnt(0)
	s_barrier
	s_and_saveexec_b64 s[14:15], s[12:13]
	s_cbranch_execz .LBB100_23
; %bb.20:
	ds_read_b32 v10, v25
	s_waitcnt lgkmcnt(0)
	v_cmp_eq_u32_e32 vcc, v9, v10
	s_and_saveexec_b64 s[16:17], vcc
	s_cbranch_execz .LBB100_22
; %bb.21:
	v_add_u32_e32 v10, 0xffffff00, v20
	ds_read_b128 v[26:29], v10
	s_waitcnt lgkmcnt(0)
	v_add_f64 v[5:6], v[5:6], v[26:27]
	v_add_f64 v[7:8], v[7:8], v[28:29]
.LBB100_22:
	s_or_b64 exec, exec, s[16:17]
.LBB100_23:
	s_or_b64 exec, exec, s[14:15]
	v_cmp_lt_u32_e64 s[14:15], 31, v0
	s_barrier
	ds_write_b128 v20, v[5:8]
	s_waitcnt lgkmcnt(0)
	s_barrier
	s_and_saveexec_b64 s[16:17], s[14:15]
	s_cbranch_execz .LBB100_27
; %bb.24:
	v_add_u32_e32 v10, 0xffffff80, v19
	ds_read_b32 v10, v10
	s_waitcnt lgkmcnt(0)
	v_cmp_eq_u32_e32 vcc, v9, v10
	s_and_saveexec_b64 s[18:19], vcc
	s_cbranch_execz .LBB100_26
; %bb.25:
	v_add_u32_e32 v10, 0xfffffe00, v20
	ds_read_b128 v[26:29], v10
	s_waitcnt lgkmcnt(0)
	v_add_f64 v[5:6], v[5:6], v[26:27]
	v_add_f64 v[7:8], v[7:8], v[28:29]
.LBB100_26:
	s_or_b64 exec, exec, s[18:19]
.LBB100_27:
	s_or_b64 exec, exec, s[16:17]
	v_cmp_lt_u32_e64 s[16:17], 63, v0
	s_barrier
	ds_write_b128 v20, v[5:8]
	s_waitcnt lgkmcnt(0)
	s_barrier
	s_and_saveexec_b64 s[18:19], s[16:17]
	s_cbranch_execz .LBB100_31
; %bb.28:
	v_add_u32_e32 v10, 0xffffff00, v19
	ds_read_b32 v10, v10
	s_waitcnt lgkmcnt(0)
	v_cmp_eq_u32_e32 vcc, v9, v10
	s_and_saveexec_b64 s[20:21], vcc
	s_cbranch_execz .LBB100_30
; %bb.29:
	v_add_u32_e32 v10, 0xfffffc00, v20
	ds_read_b128 v[26:29], v10
	s_waitcnt lgkmcnt(0)
	v_add_f64 v[5:6], v[5:6], v[26:27]
	v_add_f64 v[7:8], v[7:8], v[28:29]
.LBB100_30:
	s_or_b64 exec, exec, s[20:21]
.LBB100_31:
	s_or_b64 exec, exec, s[18:19]
	s_load_dwordx2 s[34:35], s[4:5], 0x40
	s_movk_i32 s7, 0x7f
	v_cmp_lt_u32_e64 s[18:19], s7, v0
	s_waitcnt lgkmcnt(0)
	s_barrier
	ds_write_b128 v20, v[5:8]
	s_waitcnt lgkmcnt(0)
	s_barrier
	s_and_saveexec_b64 s[20:21], s[18:19]
	s_cbranch_execz .LBB100_35
; %bb.32:
	v_add_u32_e32 v10, 0xfffffe00, v19
	ds_read_b32 v10, v10
	s_waitcnt lgkmcnt(0)
	v_cmp_eq_u32_e32 vcc, v9, v10
	s_and_saveexec_b64 s[24:25], vcc
	s_cbranch_execz .LBB100_34
; %bb.33:
	v_add_u32_e32 v10, 0xfffff800, v20
	ds_read_b128 v[26:29], v10
	s_waitcnt lgkmcnt(0)
	v_add_f64 v[5:6], v[5:6], v[26:27]
	v_add_f64 v[7:8], v[7:8], v[28:29]
.LBB100_34:
	s_or_b64 exec, exec, s[24:25]
.LBB100_35:
	s_or_b64 exec, exec, s[20:21]
	s_movk_i32 s7, 0xff
	v_cmp_gt_u32_e64 s[20:21], s7, v0
	s_barrier
	ds_write_b128 v20, v[5:8]
	s_waitcnt lgkmcnt(0)
	s_barrier
	s_and_saveexec_b64 s[26:27], s[20:21]
	s_cbranch_execz .LBB100_38
; %bb.36:
	ds_read_b32 v10, v19 offset:4
	v_cmp_lt_i32_e64 s[24:25], -1, v9
	s_waitcnt lgkmcnt(0)
	v_cmp_ne_u32_e32 vcc, v9, v10
	s_and_b64 s[24:25], s[24:25], vcc
	s_and_b64 exec, exec, s[24:25]
	s_cbranch_execz .LBB100_38
; %bb.37:
	v_mov_b32_e32 v10, 0
	v_lshlrev_b64 v[15:16], 4, v[9:10]
	v_mov_b32_e32 v10, s35
	v_add_co_u32_e32 v15, vcc, s34, v15
	v_addc_co_u32_e32 v16, vcc, v10, v16, vcc
	global_load_dwordx4 v[26:29], v[15:16], off
	s_waitcnt vmcnt(0)
	v_fma_f64 v[26:27], v[1:2], v[5:6], v[26:27]
	v_fma_f64 v[28:29], v[3:4], v[5:6], v[28:29]
	v_fma_f64 v[26:27], -v[3:4], v[7:8], v[26:27]
	v_fma_f64 v[28:29], v[1:2], v[7:8], v[28:29]
	global_store_dwordx4 v[15:16], v[26:29], off
.LBB100_38:
	s_or_b64 exec, exec, s[26:27]
	s_load_dwordx4 s[24:27], s[4:5], 0x48
	s_cmp_lt_i32 s33, 2
	s_cbranch_scc1 .LBB100_85
; %bb.39:
	s_ashr_i32 s29, s28, 31
	s_lshl_b64 s[4:5], s[28:29], 4
	s_sub_u32 s7, s42, s4
	s_movk_i32 s4, 0x400
	v_add_co_u32_e32 v5, vcc, s4, v11
	v_addc_co_u32_e32 v6, vcc, 0, v12, vcc
	v_mov_b32_e32 v7, s39
	v_add_co_u32_e32 v11, vcc, s38, v5
	v_addc_co_u32_e32 v12, vcc, v7, v6, vcc
	v_mov_b32_e32 v7, s41
	v_add_co_u32_e32 v8, vcc, s40, v13
	v_addc_co_u32_e32 v7, vcc, v7, v14, vcc
	s_movk_i32 s4, 0x800
	v_add_co_u32_e32 v13, vcc, s4, v8
	v_addc_co_u32_e32 v14, vcc, 0, v7, vcc
	v_mov_b32_e32 v7, s37
	v_add_co_u32_e32 v15, vcc, s36, v5
	v_addc_co_u32_e32 v16, vcc, v7, v6, vcc
	s_movk_i32 s4, 0x100
	v_add_co_u32_e32 v17, vcc, s4, v17
	s_subb_u32 s29, s43, s5
	v_add_u32_e32 v26, 0xffffff00, v19
	v_add_u32_e32 v27, 0xfffffc00, v20
	;; [unrolled: 1-line block ×4, first 2 shown]
	v_addc_co_u32_e64 v18, s[4:5], 0, 0, vcc
	s_add_i32 s33, s33, -1
	v_mov_b32_e32 v10, 0
	s_mov_b32 s37, 0
	s_branch .LBB100_41
.LBB100_40:                             ;   in Loop: Header=BB100_41 Depth=1
	s_or_b64 exec, exec, s[38:39]
	v_add_co_u32_e32 v11, vcc, 0x400, v11
	v_addc_co_u32_e32 v12, vcc, 0, v12, vcc
	v_add_co_u32_e32 v13, vcc, 0x800, v13
	v_addc_co_u32_e32 v14, vcc, 0, v14, vcc
	v_add_co_u32_e32 v15, vcc, 0x400, v15
	v_addc_co_u32_e32 v16, vcc, 0, v16, vcc
	v_add_co_u32_e32 v17, vcc, 0x100, v17
	s_add_i32 s33, s33, -1
	s_cmp_eq_u32 s33, 0
	v_addc_co_u32_e32 v18, vcc, 0, v18, vcc
	s_cbranch_scc1 .LBB100_85
.LBB100_41:                             ; =>This Inner Loop Header: Depth=1
	v_cmp_gt_i64_e32 vcc, s[30:31], v[17:18]
	v_mov_b32_e32 v5, 0
	v_mov_b32_e32 v7, 0
	;; [unrolled: 1-line block ×4, first 2 shown]
	v_mov_b32_e32 v9, -1
	s_and_saveexec_b64 s[4:5], vcc
	s_cbranch_execz .LBB100_43
; %bb.42:                               ;   in Loop: Header=BB100_41 Depth=1
	global_load_dword v5, v[11:12], off glc slc
	global_load_dwordx2 v[7:8], v[13:14], off glc slc
	v_mov_b32_e32 v9, s29
	s_waitcnt vmcnt(1)
	v_ashrrev_i32_e32 v6, 31, v5
	v_lshlrev_b64 v[5:6], 4, v[5:6]
	v_add_co_u32_e32 v5, vcc, s7, v5
	v_addc_co_u32_e32 v6, vcc, v9, v6, vcc
	global_load_dwordx4 v[30:33], v[5:6], off
	global_load_dword v36, v[15:16], off glc slc
	s_waitcnt vmcnt(2)
	v_cvt_f64_f32_e32 v[8:9], v8
	v_cvt_f64_f32_e32 v[5:6], v7
	s_waitcnt vmcnt(1)
	v_mul_f64 v[34:35], v[32:33], -v[8:9]
	v_mul_f64 v[32:33], v[32:33], v[5:6]
	v_fma_f64 v[5:6], v[5:6], v[30:31], v[34:35]
	v_fma_f64 v[7:8], v[8:9], v[30:31], v[32:33]
	s_waitcnt vmcnt(0)
	v_subrev_u32_e32 v9, s28, v36
.LBB100_43:                             ;   in Loop: Header=BB100_41 Depth=1
	s_or_b64 exec, exec, s[4:5]
	s_and_saveexec_b64 s[4:5], s[0:1]
	s_cbranch_execz .LBB100_50
; %bb.44:                               ;   in Loop: Header=BB100_41 Depth=1
	ds_read_b32 v30, v10 offset:5116
	s_waitcnt lgkmcnt(0)
	v_readfirstlane_b32 s36, v30
	v_cmp_ne_u32_e32 vcc, v9, v30
	s_and_saveexec_b64 s[38:39], vcc
	s_xor_b64 s[38:39], exec, s[38:39]
	s_cbranch_execz .LBB100_47
; %bb.45:                               ;   in Loop: Header=BB100_41 Depth=1
	s_cmp_lt_i32 s36, 0
	s_cbranch_scc1 .LBB100_47
; %bb.46:                               ;   in Loop: Header=BB100_41 Depth=1
	s_lshl_b64 s[40:41], s[36:37], 4
	s_add_u32 s40, s34, s40
	s_addc_u32 s41, s35, s41
	global_load_dwordx4 v[30:33], v10, s[40:41]
	ds_read_b128 v[34:37], v10 offset:4080
	s_waitcnt vmcnt(0) lgkmcnt(0)
	v_fma_f64 v[30:31], v[1:2], v[34:35], v[30:31]
	v_fma_f64 v[32:33], v[3:4], v[34:35], v[32:33]
	v_fma_f64 v[30:31], -v[3:4], v[36:37], v[30:31]
	v_fma_f64 v[32:33], v[1:2], v[36:37], v[32:33]
	global_store_dwordx4 v10, v[30:33], s[40:41]
.LBB100_47:                             ;   in Loop: Header=BB100_41 Depth=1
	s_andn2_saveexec_b64 s[38:39], s[38:39]
	s_cbranch_execz .LBB100_49
; %bb.48:                               ;   in Loop: Header=BB100_41 Depth=1
	ds_read_b128 v[30:33], v10 offset:4080
	s_waitcnt lgkmcnt(0)
	v_add_f64 v[5:6], v[5:6], v[30:31]
	v_add_f64 v[7:8], v[7:8], v[32:33]
.LBB100_49:                             ;   in Loop: Header=BB100_41 Depth=1
	s_or_b64 exec, exec, s[38:39]
.LBB100_50:                             ;   in Loop: Header=BB100_41 Depth=1
	s_or_b64 exec, exec, s[4:5]
	s_waitcnt vmcnt(0) lgkmcnt(0)
	s_barrier
	ds_write_b32 v19, v9
	ds_write_b128 v20, v[5:8]
	s_waitcnt lgkmcnt(0)
	s_barrier
	s_and_saveexec_b64 s[4:5], s[2:3]
	s_cbranch_execz .LBB100_54
; %bb.51:                               ;   in Loop: Header=BB100_41 Depth=1
	ds_read_b32 v30, v21
	s_waitcnt lgkmcnt(0)
	v_cmp_eq_u32_e32 vcc, v9, v30
	s_and_saveexec_b64 s[38:39], vcc
	s_cbranch_execz .LBB100_53
; %bb.52:                               ;   in Loop: Header=BB100_41 Depth=1
	v_add_u32_e32 v30, -16, v20
	ds_read_b128 v[30:33], v30
	s_waitcnt lgkmcnt(0)
	v_add_f64 v[5:6], v[5:6], v[30:31]
	v_add_f64 v[7:8], v[7:8], v[32:33]
.LBB100_53:                             ;   in Loop: Header=BB100_41 Depth=1
	s_or_b64 exec, exec, s[38:39]
.LBB100_54:                             ;   in Loop: Header=BB100_41 Depth=1
	s_or_b64 exec, exec, s[4:5]
	s_barrier
	ds_write_b128 v20, v[5:8]
	s_waitcnt lgkmcnt(0)
	s_barrier
	s_and_saveexec_b64 s[4:5], s[22:23]
	s_cbranch_execz .LBB100_58
; %bb.55:                               ;   in Loop: Header=BB100_41 Depth=1
	ds_read_b32 v30, v22
	s_waitcnt lgkmcnt(0)
	v_cmp_eq_u32_e32 vcc, v9, v30
	s_and_saveexec_b64 s[38:39], vcc
	s_cbranch_execz .LBB100_57
; %bb.56:                               ;   in Loop: Header=BB100_41 Depth=1
	v_subrev_u32_e32 v30, 32, v20
	ds_read_b128 v[30:33], v30
	s_waitcnt lgkmcnt(0)
	v_add_f64 v[5:6], v[5:6], v[30:31]
	v_add_f64 v[7:8], v[7:8], v[32:33]
.LBB100_57:                             ;   in Loop: Header=BB100_41 Depth=1
	s_or_b64 exec, exec, s[38:39]
.LBB100_58:                             ;   in Loop: Header=BB100_41 Depth=1
	s_or_b64 exec, exec, s[4:5]
	s_barrier
	ds_write_b128 v20, v[5:8]
	s_waitcnt lgkmcnt(0)
	s_barrier
	s_and_saveexec_b64 s[4:5], s[8:9]
	s_cbranch_execz .LBB100_62
; %bb.59:                               ;   in Loop: Header=BB100_41 Depth=1
	ds_read_b32 v30, v23
	s_waitcnt lgkmcnt(0)
	v_cmp_eq_u32_e32 vcc, v9, v30
	s_and_saveexec_b64 s[38:39], vcc
	s_cbranch_execz .LBB100_61
; %bb.60:                               ;   in Loop: Header=BB100_41 Depth=1
	v_subrev_u32_e32 v30, 64, v20
	ds_read_b128 v[30:33], v30
	s_waitcnt lgkmcnt(0)
	v_add_f64 v[5:6], v[5:6], v[30:31]
	v_add_f64 v[7:8], v[7:8], v[32:33]
.LBB100_61:                             ;   in Loop: Header=BB100_41 Depth=1
	s_or_b64 exec, exec, s[38:39]
.LBB100_62:                             ;   in Loop: Header=BB100_41 Depth=1
	s_or_b64 exec, exec, s[4:5]
	s_barrier
	ds_write_b128 v20, v[5:8]
	s_waitcnt lgkmcnt(0)
	s_barrier
	s_and_saveexec_b64 s[4:5], s[10:11]
	s_cbranch_execz .LBB100_66
; %bb.63:                               ;   in Loop: Header=BB100_41 Depth=1
	ds_read_b32 v30, v24
	s_waitcnt lgkmcnt(0)
	v_cmp_eq_u32_e32 vcc, v9, v30
	s_and_saveexec_b64 s[38:39], vcc
	s_cbranch_execz .LBB100_65
; %bb.64:                               ;   in Loop: Header=BB100_41 Depth=1
	v_add_u32_e32 v30, 0xffffff80, v20
	ds_read_b128 v[30:33], v30
	s_waitcnt lgkmcnt(0)
	v_add_f64 v[5:6], v[5:6], v[30:31]
	v_add_f64 v[7:8], v[7:8], v[32:33]
.LBB100_65:                             ;   in Loop: Header=BB100_41 Depth=1
	s_or_b64 exec, exec, s[38:39]
.LBB100_66:                             ;   in Loop: Header=BB100_41 Depth=1
	s_or_b64 exec, exec, s[4:5]
	s_barrier
	ds_write_b128 v20, v[5:8]
	s_waitcnt lgkmcnt(0)
	s_barrier
	s_and_saveexec_b64 s[4:5], s[12:13]
	s_cbranch_execz .LBB100_70
; %bb.67:                               ;   in Loop: Header=BB100_41 Depth=1
	ds_read_b32 v30, v25
	s_waitcnt lgkmcnt(0)
	v_cmp_eq_u32_e32 vcc, v9, v30
	s_and_saveexec_b64 s[38:39], vcc
	s_cbranch_execz .LBB100_69
; %bb.68:                               ;   in Loop: Header=BB100_41 Depth=1
	v_add_u32_e32 v30, 0xffffff00, v20
	ds_read_b128 v[30:33], v30
	s_waitcnt lgkmcnt(0)
	v_add_f64 v[5:6], v[5:6], v[30:31]
	v_add_f64 v[7:8], v[7:8], v[32:33]
.LBB100_69:                             ;   in Loop: Header=BB100_41 Depth=1
	s_or_b64 exec, exec, s[38:39]
.LBB100_70:                             ;   in Loop: Header=BB100_41 Depth=1
	s_or_b64 exec, exec, s[4:5]
	s_barrier
	ds_write_b128 v20, v[5:8]
	s_waitcnt lgkmcnt(0)
	s_barrier
	s_and_saveexec_b64 s[4:5], s[14:15]
	s_cbranch_execz .LBB100_74
; %bb.71:                               ;   in Loop: Header=BB100_41 Depth=1
	v_add_u32_e32 v30, 0xffffff80, v19
	ds_read_b32 v30, v30
	s_waitcnt lgkmcnt(0)
	v_cmp_eq_u32_e32 vcc, v9, v30
	s_and_saveexec_b64 s[38:39], vcc
	s_cbranch_execz .LBB100_73
; %bb.72:                               ;   in Loop: Header=BB100_41 Depth=1
	v_add_u32_e32 v30, 0xfffffe00, v20
	ds_read_b128 v[30:33], v30
	s_waitcnt lgkmcnt(0)
	v_add_f64 v[5:6], v[5:6], v[30:31]
	v_add_f64 v[7:8], v[7:8], v[32:33]
.LBB100_73:                             ;   in Loop: Header=BB100_41 Depth=1
	s_or_b64 exec, exec, s[38:39]
.LBB100_74:                             ;   in Loop: Header=BB100_41 Depth=1
	s_or_b64 exec, exec, s[4:5]
	s_barrier
	ds_write_b128 v20, v[5:8]
	s_waitcnt lgkmcnt(0)
	s_barrier
	s_and_saveexec_b64 s[4:5], s[16:17]
	s_cbranch_execz .LBB100_78
; %bb.75:                               ;   in Loop: Header=BB100_41 Depth=1
	ds_read_b32 v30, v26
	s_waitcnt lgkmcnt(0)
	v_cmp_eq_u32_e32 vcc, v9, v30
	s_and_saveexec_b64 s[38:39], vcc
	s_cbranch_execz .LBB100_77
; %bb.76:                               ;   in Loop: Header=BB100_41 Depth=1
	ds_read_b128 v[30:33], v27
	s_waitcnt lgkmcnt(0)
	v_add_f64 v[5:6], v[5:6], v[30:31]
	v_add_f64 v[7:8], v[7:8], v[32:33]
.LBB100_77:                             ;   in Loop: Header=BB100_41 Depth=1
	s_or_b64 exec, exec, s[38:39]
.LBB100_78:                             ;   in Loop: Header=BB100_41 Depth=1
	s_or_b64 exec, exec, s[4:5]
	s_barrier
	ds_write_b128 v20, v[5:8]
	s_waitcnt lgkmcnt(0)
	s_barrier
	s_and_saveexec_b64 s[4:5], s[18:19]
	s_cbranch_execz .LBB100_82
; %bb.79:                               ;   in Loop: Header=BB100_41 Depth=1
	ds_read_b32 v30, v28
	s_waitcnt lgkmcnt(0)
	v_cmp_eq_u32_e32 vcc, v9, v30
	s_and_saveexec_b64 s[38:39], vcc
	s_cbranch_execz .LBB100_81
; %bb.80:                               ;   in Loop: Header=BB100_41 Depth=1
	ds_read_b128 v[30:33], v29
	s_waitcnt lgkmcnt(0)
	v_add_f64 v[5:6], v[5:6], v[30:31]
	v_add_f64 v[7:8], v[7:8], v[32:33]
.LBB100_81:                             ;   in Loop: Header=BB100_41 Depth=1
	s_or_b64 exec, exec, s[38:39]
.LBB100_82:                             ;   in Loop: Header=BB100_41 Depth=1
	s_or_b64 exec, exec, s[4:5]
	s_barrier
	ds_write_b128 v20, v[5:8]
	s_waitcnt lgkmcnt(0)
	s_barrier
	s_and_saveexec_b64 s[38:39], s[20:21]
	s_cbranch_execz .LBB100_40
; %bb.83:                               ;   in Loop: Header=BB100_41 Depth=1
	ds_read_b32 v30, v19 offset:4
	v_cmp_lt_i32_e64 s[4:5], -1, v9
	s_waitcnt lgkmcnt(0)
	v_cmp_ne_u32_e32 vcc, v9, v30
	s_and_b64 s[4:5], s[4:5], vcc
	s_and_b64 exec, exec, s[4:5]
	s_cbranch_execz .LBB100_40
; %bb.84:                               ;   in Loop: Header=BB100_41 Depth=1
	v_lshlrev_b64 v[30:31], 4, v[9:10]
	v_mov_b32_e32 v32, s35
	v_add_co_u32_e32 v34, vcc, s34, v30
	v_addc_co_u32_e32 v35, vcc, v32, v31, vcc
	global_load_dwordx4 v[30:33], v[34:35], off
	s_waitcnt vmcnt(0)
	v_fma_f64 v[30:31], v[1:2], v[5:6], v[30:31]
	v_fma_f64 v[32:33], v[3:4], v[5:6], v[32:33]
	v_fma_f64 v[30:31], -v[3:4], v[7:8], v[30:31]
	v_fma_f64 v[32:33], v[1:2], v[7:8], v[32:33]
	global_store_dwordx4 v[34:35], v[30:33], off
	s_branch .LBB100_40
.LBB100_85:
	s_movk_i32 s0, 0xff
	v_cmp_eq_u32_e32 vcc, s0, v0
	s_and_b64 exec, exec, vcc
	s_cbranch_execz .LBB100_87
; %bb.86:
	v_mul_f64 v[10:11], v[7:8], -v[3:4]
	v_mul_f64 v[7:8], v[1:2], v[7:8]
	s_mov_b32 s7, 0
	s_lshl_b64 s[0:1], s[6:7], 2
	s_waitcnt lgkmcnt(0)
	s_add_u32 s0, s24, s0
	s_addc_u32 s1, s25, s1
	v_fma_f64 v[0:1], v[1:2], v[5:6], v[10:11]
	v_fma_f64 v[2:3], v[3:4], v[5:6], v[7:8]
	v_mov_b32_e32 v4, 0
	global_store_dword v4, v9, s[0:1] glc slc
	s_lshl_b64 s[0:1], s[6:7], 4
	s_add_u32 s0, s26, s0
	s_addc_u32 s1, s27, s1
	global_store_dwordx4 v4, v[0:3], s[0:1] glc slc
.LBB100_87:
	s_endpgm
	.section	.rodata,"a",@progbits
	.p2align	6, 0x0
	.amdhsa_kernel _ZN9rocsparseL22coomvn_segmented_loopsILj256Ei21rocsparse_complex_numIfES1_IdES3_S3_EEvlT0_NS_24const_host_device_scalarIT4_EEPKS4_S9_PKT1_PKT2_PT3_PS4_PS6_21rocsparse_index_base_b
		.amdhsa_group_segment_fixed_size 5120
		.amdhsa_private_segment_fixed_size 0
		.amdhsa_kernarg_size 96
		.amdhsa_user_sgpr_count 6
		.amdhsa_user_sgpr_private_segment_buffer 1
		.amdhsa_user_sgpr_dispatch_ptr 0
		.amdhsa_user_sgpr_queue_ptr 0
		.amdhsa_user_sgpr_kernarg_segment_ptr 1
		.amdhsa_user_sgpr_dispatch_id 0
		.amdhsa_user_sgpr_flat_scratch_init 0
		.amdhsa_user_sgpr_private_segment_size 0
		.amdhsa_uses_dynamic_stack 0
		.amdhsa_system_sgpr_private_segment_wavefront_offset 0
		.amdhsa_system_sgpr_workgroup_id_x 1
		.amdhsa_system_sgpr_workgroup_id_y 0
		.amdhsa_system_sgpr_workgroup_id_z 0
		.amdhsa_system_sgpr_workgroup_info 0
		.amdhsa_system_vgpr_workitem_id 0
		.amdhsa_next_free_vgpr 38
		.amdhsa_next_free_sgpr 44
		.amdhsa_reserve_vcc 1
		.amdhsa_reserve_flat_scratch 0
		.amdhsa_float_round_mode_32 0
		.amdhsa_float_round_mode_16_64 0
		.amdhsa_float_denorm_mode_32 3
		.amdhsa_float_denorm_mode_16_64 3
		.amdhsa_dx10_clamp 1
		.amdhsa_ieee_mode 1
		.amdhsa_fp16_overflow 0
		.amdhsa_exception_fp_ieee_invalid_op 0
		.amdhsa_exception_fp_denorm_src 0
		.amdhsa_exception_fp_ieee_div_zero 0
		.amdhsa_exception_fp_ieee_overflow 0
		.amdhsa_exception_fp_ieee_underflow 0
		.amdhsa_exception_fp_ieee_inexact 0
		.amdhsa_exception_int_div_zero 0
	.end_amdhsa_kernel
	.section	.text._ZN9rocsparseL22coomvn_segmented_loopsILj256Ei21rocsparse_complex_numIfES1_IdES3_S3_EEvlT0_NS_24const_host_device_scalarIT4_EEPKS4_S9_PKT1_PKT2_PT3_PS4_PS6_21rocsparse_index_base_b,"axG",@progbits,_ZN9rocsparseL22coomvn_segmented_loopsILj256Ei21rocsparse_complex_numIfES1_IdES3_S3_EEvlT0_NS_24const_host_device_scalarIT4_EEPKS4_S9_PKT1_PKT2_PT3_PS4_PS6_21rocsparse_index_base_b,comdat
.Lfunc_end100:
	.size	_ZN9rocsparseL22coomvn_segmented_loopsILj256Ei21rocsparse_complex_numIfES1_IdES3_S3_EEvlT0_NS_24const_host_device_scalarIT4_EEPKS4_S9_PKT1_PKT2_PT3_PS4_PS6_21rocsparse_index_base_b, .Lfunc_end100-_ZN9rocsparseL22coomvn_segmented_loopsILj256Ei21rocsparse_complex_numIfES1_IdES3_S3_EEvlT0_NS_24const_host_device_scalarIT4_EEPKS4_S9_PKT1_PKT2_PT3_PS4_PS6_21rocsparse_index_base_b
                                        ; -- End function
	.set _ZN9rocsparseL22coomvn_segmented_loopsILj256Ei21rocsparse_complex_numIfES1_IdES3_S3_EEvlT0_NS_24const_host_device_scalarIT4_EEPKS4_S9_PKT1_PKT2_PT3_PS4_PS6_21rocsparse_index_base_b.num_vgpr, 38
	.set _ZN9rocsparseL22coomvn_segmented_loopsILj256Ei21rocsparse_complex_numIfES1_IdES3_S3_EEvlT0_NS_24const_host_device_scalarIT4_EEPKS4_S9_PKT1_PKT2_PT3_PS4_PS6_21rocsparse_index_base_b.num_agpr, 0
	.set _ZN9rocsparseL22coomvn_segmented_loopsILj256Ei21rocsparse_complex_numIfES1_IdES3_S3_EEvlT0_NS_24const_host_device_scalarIT4_EEPKS4_S9_PKT1_PKT2_PT3_PS4_PS6_21rocsparse_index_base_b.numbered_sgpr, 44
	.set _ZN9rocsparseL22coomvn_segmented_loopsILj256Ei21rocsparse_complex_numIfES1_IdES3_S3_EEvlT0_NS_24const_host_device_scalarIT4_EEPKS4_S9_PKT1_PKT2_PT3_PS4_PS6_21rocsparse_index_base_b.num_named_barrier, 0
	.set _ZN9rocsparseL22coomvn_segmented_loopsILj256Ei21rocsparse_complex_numIfES1_IdES3_S3_EEvlT0_NS_24const_host_device_scalarIT4_EEPKS4_S9_PKT1_PKT2_PT3_PS4_PS6_21rocsparse_index_base_b.private_seg_size, 0
	.set _ZN9rocsparseL22coomvn_segmented_loopsILj256Ei21rocsparse_complex_numIfES1_IdES3_S3_EEvlT0_NS_24const_host_device_scalarIT4_EEPKS4_S9_PKT1_PKT2_PT3_PS4_PS6_21rocsparse_index_base_b.uses_vcc, 1
	.set _ZN9rocsparseL22coomvn_segmented_loopsILj256Ei21rocsparse_complex_numIfES1_IdES3_S3_EEvlT0_NS_24const_host_device_scalarIT4_EEPKS4_S9_PKT1_PKT2_PT3_PS4_PS6_21rocsparse_index_base_b.uses_flat_scratch, 0
	.set _ZN9rocsparseL22coomvn_segmented_loopsILj256Ei21rocsparse_complex_numIfES1_IdES3_S3_EEvlT0_NS_24const_host_device_scalarIT4_EEPKS4_S9_PKT1_PKT2_PT3_PS4_PS6_21rocsparse_index_base_b.has_dyn_sized_stack, 0
	.set _ZN9rocsparseL22coomvn_segmented_loopsILj256Ei21rocsparse_complex_numIfES1_IdES3_S3_EEvlT0_NS_24const_host_device_scalarIT4_EEPKS4_S9_PKT1_PKT2_PT3_PS4_PS6_21rocsparse_index_base_b.has_recursion, 0
	.set _ZN9rocsparseL22coomvn_segmented_loopsILj256Ei21rocsparse_complex_numIfES1_IdES3_S3_EEvlT0_NS_24const_host_device_scalarIT4_EEPKS4_S9_PKT1_PKT2_PT3_PS4_PS6_21rocsparse_index_base_b.has_indirect_call, 0
	.section	.AMDGPU.csdata,"",@progbits
; Kernel info:
; codeLenInByte = 2956
; TotalNumSgprs: 48
; NumVgprs: 38
; ScratchSize: 0
; MemoryBound: 0
; FloatMode: 240
; IeeeMode: 1
; LDSByteSize: 5120 bytes/workgroup (compile time only)
; SGPRBlocks: 5
; VGPRBlocks: 9
; NumSGPRsForWavesPerEU: 48
; NumVGPRsForWavesPerEU: 38
; Occupancy: 6
; WaveLimiterHint : 1
; COMPUTE_PGM_RSRC2:SCRATCH_EN: 0
; COMPUTE_PGM_RSRC2:USER_SGPR: 6
; COMPUTE_PGM_RSRC2:TRAP_HANDLER: 0
; COMPUTE_PGM_RSRC2:TGID_X_EN: 1
; COMPUTE_PGM_RSRC2:TGID_Y_EN: 0
; COMPUTE_PGM_RSRC2:TGID_Z_EN: 0
; COMPUTE_PGM_RSRC2:TIDIG_COMP_CNT: 0
	.section	.text._ZN9rocsparseL13coomvt_kernelILj1024Ei21rocsparse_complex_numIfES1_IdES3_S3_EEv20rocsparse_operation_lNS_24const_host_device_scalarIT4_EEPKT0_SA_PKT1_PKT2_PT3_21rocsparse_index_base_b,"axG",@progbits,_ZN9rocsparseL13coomvt_kernelILj1024Ei21rocsparse_complex_numIfES1_IdES3_S3_EEv20rocsparse_operation_lNS_24const_host_device_scalarIT4_EEPKT0_SA_PKT1_PKT2_PT3_21rocsparse_index_base_b,comdat
	.globl	_ZN9rocsparseL13coomvt_kernelILj1024Ei21rocsparse_complex_numIfES1_IdES3_S3_EEv20rocsparse_operation_lNS_24const_host_device_scalarIT4_EEPKT0_SA_PKT1_PKT2_PT3_21rocsparse_index_base_b ; -- Begin function _ZN9rocsparseL13coomvt_kernelILj1024Ei21rocsparse_complex_numIfES1_IdES3_S3_EEv20rocsparse_operation_lNS_24const_host_device_scalarIT4_EEPKT0_SA_PKT1_PKT2_PT3_21rocsparse_index_base_b
	.p2align	8
	.type	_ZN9rocsparseL13coomvt_kernelILj1024Ei21rocsparse_complex_numIfES1_IdES3_S3_EEv20rocsparse_operation_lNS_24const_host_device_scalarIT4_EEPKT0_SA_PKT1_PKT2_PT3_21rocsparse_index_base_b,@function
_ZN9rocsparseL13coomvt_kernelILj1024Ei21rocsparse_complex_numIfES1_IdES3_S3_EEv20rocsparse_operation_lNS_24const_host_device_scalarIT4_EEPKT0_SA_PKT1_PKT2_PT3_21rocsparse_index_base_b: ; @_ZN9rocsparseL13coomvt_kernelILj1024Ei21rocsparse_complex_numIfES1_IdES3_S3_EEv20rocsparse_operation_lNS_24const_host_device_scalarIT4_EEPKT0_SA_PKT1_PKT2_PT3_21rocsparse_index_base_b
; %bb.0:
	s_load_dwordx2 s[2:3], s[4:5], 0x48
	s_load_dwordx4 s[8:11], s[4:5], 0x8
	s_add_u32 s0, s4, 16
	s_addc_u32 s1, s5, 0
	s_waitcnt lgkmcnt(0)
	s_bitcmp1_b32 s3, 0
	s_cselect_b32 s1, s1, s11
	s_cselect_b32 s0, s0, s10
	v_mov_b32_e32 v1, s0
	v_mov_b32_e32 v2, s1
	flat_load_dwordx4 v[1:4], v[1:2]
	s_waitcnt vmcnt(0) lgkmcnt(0)
	v_cmp_neq_f64_e32 vcc, 0, v[1:2]
	v_cmp_neq_f64_e64 s[0:1], 0, v[3:4]
	s_or_b64 s[0:1], vcc, s[0:1]
	s_and_saveexec_b64 s[10:11], s[0:1]
	s_cbranch_execz .LBB101_6
; %bb.1:
	s_load_dword s0, s[4:5], 0x5c
	v_mov_b32_e32 v6, 0
	s_waitcnt lgkmcnt(0)
	s_and_b32 s0, s0, 0xffff
	s_mul_i32 s6, s6, s0
	v_add_u32_e32 v5, s6, v0
	v_cmp_gt_i64_e32 vcc, s[8:9], v[5:6]
	s_and_b64 exec, exec, vcc
	s_cbranch_execz .LBB101_6
; %bb.2:
	s_load_dwordx8 s[8:15], s[4:5], 0x20
	v_lshlrev_b64 v[7:8], 2, v[5:6]
	v_lshlrev_b64 v[5:6], 3, v[5:6]
	s_load_dwordx2 s[0:1], s[4:5], 0x40
	s_waitcnt lgkmcnt(0)
	v_mov_b32_e32 v0, s9
	v_add_co_u32_e32 v9, vcc, s8, v7
	v_addc_co_u32_e32 v10, vcc, v0, v8, vcc
	global_load_dword v0, v[9:10], off
	v_mov_b32_e32 v9, s11
	v_add_co_u32_e32 v7, vcc, s10, v7
	v_addc_co_u32_e32 v8, vcc, v9, v8, vcc
	global_load_dword v11, v[7:8], off
	v_mov_b32_e32 v7, s13
	v_add_co_u32_e32 v5, vcc, s12, v5
	v_addc_co_u32_e32 v6, vcc, v7, v6, vcc
	global_load_dwordx2 v[9:10], v[5:6], off
	v_mov_b32_e32 v7, s15
	s_waitcnt vmcnt(2)
	v_subrev_u32_e32 v5, s2, v0
	v_ashrrev_i32_e32 v6, 31, v5
	v_lshlrev_b64 v[5:6], 4, v[5:6]
	v_mov_b32_e32 v0, s1
	v_add_co_u32_e32 v5, vcc, s14, v5
	v_addc_co_u32_e32 v6, vcc, v7, v6, vcc
	global_load_dwordx4 v[5:8], v[5:6], off
	s_waitcnt vmcnt(2)
	v_subrev_u32_e32 v11, s2, v11
	v_ashrrev_i32_e32 v12, 31, v11
	v_lshlrev_b64 v[11:12], 4, v[11:12]
	v_add_co_u32_e32 v13, vcc, s0, v11
	v_addc_co_u32_e32 v14, vcc, v0, v12, vcc
	global_load_dwordx2 v[11:12], v[13:14], off
	s_load_dword s0, s[4:5], 0x0
	s_waitcnt lgkmcnt(0)
	s_cmpk_eq_i32 s0, 0x71
	s_cselect_b64 s[0:1], -1, 0
	s_waitcnt vmcnt(2)
	v_cndmask_b32_e64 v0, v10, -v10, s[0:1]
	v_cvt_f64_f32_e32 v[15:16], v0
	v_cvt_f64_f32_e32 v[9:10], v9
	s_mov_b64 s[0:1], 0
	v_mul_f64 v[17:18], v[1:2], v[15:16]
	v_mul_f64 v[19:20], -v[3:4], v[15:16]
	v_fma_f64 v[15:16], v[3:4], v[9:10], v[17:18]
	v_fma_f64 v[0:1], v[1:2], v[9:10], v[19:20]
	s_waitcnt vmcnt(1)
	v_mul_f64 v[2:3], v[7:8], -v[15:16]
	v_fma_f64 v[2:3], v[0:1], v[5:6], v[2:3]
.LBB101_3:                              ; =>This Inner Loop Header: Depth=1
	s_waitcnt vmcnt(0)
	v_add_f64 v[9:10], v[11:12], v[2:3]
	global_atomic_cmpswap_x2 v[9:10], v[13:14], v[9:12], off glc
	s_waitcnt vmcnt(0)
	v_cmp_eq_u64_e32 vcc, v[9:10], v[11:12]
	v_mov_b32_e32 v12, v10
	s_or_b64 s[0:1], vcc, s[0:1]
	v_mov_b32_e32 v11, v9
	s_andn2_b64 exec, exec, s[0:1]
	s_cbranch_execnz .LBB101_3
; %bb.4:
	s_or_b64 exec, exec, s[0:1]
	global_load_dwordx2 v[2:3], v[13:14], off offset:8
	v_mul_f64 v[0:1], v[7:8], v[0:1]
	s_mov_b64 s[0:1], 0
	v_fma_f64 v[4:5], v[15:16], v[5:6], v[0:1]
.LBB101_5:                              ; =>This Inner Loop Header: Depth=1
	s_waitcnt vmcnt(0)
	v_add_f64 v[0:1], v[2:3], v[4:5]
	global_atomic_cmpswap_x2 v[0:1], v[13:14], v[0:3], off offset:8 glc
	s_waitcnt vmcnt(0)
	v_cmp_eq_u64_e32 vcc, v[0:1], v[2:3]
	v_mov_b32_e32 v3, v1
	s_or_b64 s[0:1], vcc, s[0:1]
	v_mov_b32_e32 v2, v0
	s_andn2_b64 exec, exec, s[0:1]
	s_cbranch_execnz .LBB101_5
.LBB101_6:
	s_endpgm
	.section	.rodata,"a",@progbits
	.p2align	6, 0x0
	.amdhsa_kernel _ZN9rocsparseL13coomvt_kernelILj1024Ei21rocsparse_complex_numIfES1_IdES3_S3_EEv20rocsparse_operation_lNS_24const_host_device_scalarIT4_EEPKT0_SA_PKT1_PKT2_PT3_21rocsparse_index_base_b
		.amdhsa_group_segment_fixed_size 0
		.amdhsa_private_segment_fixed_size 0
		.amdhsa_kernarg_size 336
		.amdhsa_user_sgpr_count 6
		.amdhsa_user_sgpr_private_segment_buffer 1
		.amdhsa_user_sgpr_dispatch_ptr 0
		.amdhsa_user_sgpr_queue_ptr 0
		.amdhsa_user_sgpr_kernarg_segment_ptr 1
		.amdhsa_user_sgpr_dispatch_id 0
		.amdhsa_user_sgpr_flat_scratch_init 0
		.amdhsa_user_sgpr_private_segment_size 0
		.amdhsa_uses_dynamic_stack 0
		.amdhsa_system_sgpr_private_segment_wavefront_offset 0
		.amdhsa_system_sgpr_workgroup_id_x 1
		.amdhsa_system_sgpr_workgroup_id_y 0
		.amdhsa_system_sgpr_workgroup_id_z 0
		.amdhsa_system_sgpr_workgroup_info 0
		.amdhsa_system_vgpr_workitem_id 0
		.amdhsa_next_free_vgpr 21
		.amdhsa_next_free_sgpr 16
		.amdhsa_reserve_vcc 1
		.amdhsa_reserve_flat_scratch 0
		.amdhsa_float_round_mode_32 0
		.amdhsa_float_round_mode_16_64 0
		.amdhsa_float_denorm_mode_32 3
		.amdhsa_float_denorm_mode_16_64 3
		.amdhsa_dx10_clamp 1
		.amdhsa_ieee_mode 1
		.amdhsa_fp16_overflow 0
		.amdhsa_exception_fp_ieee_invalid_op 0
		.amdhsa_exception_fp_denorm_src 0
		.amdhsa_exception_fp_ieee_div_zero 0
		.amdhsa_exception_fp_ieee_overflow 0
		.amdhsa_exception_fp_ieee_underflow 0
		.amdhsa_exception_fp_ieee_inexact 0
		.amdhsa_exception_int_div_zero 0
	.end_amdhsa_kernel
	.section	.text._ZN9rocsparseL13coomvt_kernelILj1024Ei21rocsparse_complex_numIfES1_IdES3_S3_EEv20rocsparse_operation_lNS_24const_host_device_scalarIT4_EEPKT0_SA_PKT1_PKT2_PT3_21rocsparse_index_base_b,"axG",@progbits,_ZN9rocsparseL13coomvt_kernelILj1024Ei21rocsparse_complex_numIfES1_IdES3_S3_EEv20rocsparse_operation_lNS_24const_host_device_scalarIT4_EEPKT0_SA_PKT1_PKT2_PT3_21rocsparse_index_base_b,comdat
.Lfunc_end101:
	.size	_ZN9rocsparseL13coomvt_kernelILj1024Ei21rocsparse_complex_numIfES1_IdES3_S3_EEv20rocsparse_operation_lNS_24const_host_device_scalarIT4_EEPKT0_SA_PKT1_PKT2_PT3_21rocsparse_index_base_b, .Lfunc_end101-_ZN9rocsparseL13coomvt_kernelILj1024Ei21rocsparse_complex_numIfES1_IdES3_S3_EEv20rocsparse_operation_lNS_24const_host_device_scalarIT4_EEPKT0_SA_PKT1_PKT2_PT3_21rocsparse_index_base_b
                                        ; -- End function
	.set _ZN9rocsparseL13coomvt_kernelILj1024Ei21rocsparse_complex_numIfES1_IdES3_S3_EEv20rocsparse_operation_lNS_24const_host_device_scalarIT4_EEPKT0_SA_PKT1_PKT2_PT3_21rocsparse_index_base_b.num_vgpr, 21
	.set _ZN9rocsparseL13coomvt_kernelILj1024Ei21rocsparse_complex_numIfES1_IdES3_S3_EEv20rocsparse_operation_lNS_24const_host_device_scalarIT4_EEPKT0_SA_PKT1_PKT2_PT3_21rocsparse_index_base_b.num_agpr, 0
	.set _ZN9rocsparseL13coomvt_kernelILj1024Ei21rocsparse_complex_numIfES1_IdES3_S3_EEv20rocsparse_operation_lNS_24const_host_device_scalarIT4_EEPKT0_SA_PKT1_PKT2_PT3_21rocsparse_index_base_b.numbered_sgpr, 16
	.set _ZN9rocsparseL13coomvt_kernelILj1024Ei21rocsparse_complex_numIfES1_IdES3_S3_EEv20rocsparse_operation_lNS_24const_host_device_scalarIT4_EEPKT0_SA_PKT1_PKT2_PT3_21rocsparse_index_base_b.num_named_barrier, 0
	.set _ZN9rocsparseL13coomvt_kernelILj1024Ei21rocsparse_complex_numIfES1_IdES3_S3_EEv20rocsparse_operation_lNS_24const_host_device_scalarIT4_EEPKT0_SA_PKT1_PKT2_PT3_21rocsparse_index_base_b.private_seg_size, 0
	.set _ZN9rocsparseL13coomvt_kernelILj1024Ei21rocsparse_complex_numIfES1_IdES3_S3_EEv20rocsparse_operation_lNS_24const_host_device_scalarIT4_EEPKT0_SA_PKT1_PKT2_PT3_21rocsparse_index_base_b.uses_vcc, 1
	.set _ZN9rocsparseL13coomvt_kernelILj1024Ei21rocsparse_complex_numIfES1_IdES3_S3_EEv20rocsparse_operation_lNS_24const_host_device_scalarIT4_EEPKT0_SA_PKT1_PKT2_PT3_21rocsparse_index_base_b.uses_flat_scratch, 0
	.set _ZN9rocsparseL13coomvt_kernelILj1024Ei21rocsparse_complex_numIfES1_IdES3_S3_EEv20rocsparse_operation_lNS_24const_host_device_scalarIT4_EEPKT0_SA_PKT1_PKT2_PT3_21rocsparse_index_base_b.has_dyn_sized_stack, 0
	.set _ZN9rocsparseL13coomvt_kernelILj1024Ei21rocsparse_complex_numIfES1_IdES3_S3_EEv20rocsparse_operation_lNS_24const_host_device_scalarIT4_EEPKT0_SA_PKT1_PKT2_PT3_21rocsparse_index_base_b.has_recursion, 0
	.set _ZN9rocsparseL13coomvt_kernelILj1024Ei21rocsparse_complex_numIfES1_IdES3_S3_EEv20rocsparse_operation_lNS_24const_host_device_scalarIT4_EEPKT0_SA_PKT1_PKT2_PT3_21rocsparse_index_base_b.has_indirect_call, 0
	.section	.AMDGPU.csdata,"",@progbits
; Kernel info:
; codeLenInByte = 532
; TotalNumSgprs: 20
; NumVgprs: 21
; ScratchSize: 0
; MemoryBound: 0
; FloatMode: 240
; IeeeMode: 1
; LDSByteSize: 0 bytes/workgroup (compile time only)
; SGPRBlocks: 2
; VGPRBlocks: 5
; NumSGPRsForWavesPerEU: 20
; NumVGPRsForWavesPerEU: 21
; Occupancy: 10
; WaveLimiterHint : 1
; COMPUTE_PGM_RSRC2:SCRATCH_EN: 0
; COMPUTE_PGM_RSRC2:USER_SGPR: 6
; COMPUTE_PGM_RSRC2:TRAP_HANDLER: 0
; COMPUTE_PGM_RSRC2:TGID_X_EN: 1
; COMPUTE_PGM_RSRC2:TGID_Y_EN: 0
; COMPUTE_PGM_RSRC2:TGID_Z_EN: 0
; COMPUTE_PGM_RSRC2:TIDIG_COMP_CNT: 0
	.section	.text._ZN9rocsparseL19coomvn_atomic_loopsILj256ELj1Ei21rocsparse_complex_numIfES1_IdES3_S3_EEvlNS_24const_host_device_scalarIT5_EEPKT1_S9_PKT2_PKT3_PT4_21rocsparse_index_base_b,"axG",@progbits,_ZN9rocsparseL19coomvn_atomic_loopsILj256ELj1Ei21rocsparse_complex_numIfES1_IdES3_S3_EEvlNS_24const_host_device_scalarIT5_EEPKT1_S9_PKT2_PKT3_PT4_21rocsparse_index_base_b,comdat
	.globl	_ZN9rocsparseL19coomvn_atomic_loopsILj256ELj1Ei21rocsparse_complex_numIfES1_IdES3_S3_EEvlNS_24const_host_device_scalarIT5_EEPKT1_S9_PKT2_PKT3_PT4_21rocsparse_index_base_b ; -- Begin function _ZN9rocsparseL19coomvn_atomic_loopsILj256ELj1Ei21rocsparse_complex_numIfES1_IdES3_S3_EEvlNS_24const_host_device_scalarIT5_EEPKT1_S9_PKT2_PKT3_PT4_21rocsparse_index_base_b
	.p2align	8
	.type	_ZN9rocsparseL19coomvn_atomic_loopsILj256ELj1Ei21rocsparse_complex_numIfES1_IdES3_S3_EEvlNS_24const_host_device_scalarIT5_EEPKT1_S9_PKT2_PKT3_PT4_21rocsparse_index_base_b,@function
_ZN9rocsparseL19coomvn_atomic_loopsILj256ELj1Ei21rocsparse_complex_numIfES1_IdES3_S3_EEvlNS_24const_host_device_scalarIT5_EEPKT1_S9_PKT2_PKT3_PT4_21rocsparse_index_base_b: ; @_ZN9rocsparseL19coomvn_atomic_loopsILj256ELj1Ei21rocsparse_complex_numIfES1_IdES3_S3_EEvlNS_24const_host_device_scalarIT5_EEPKT1_S9_PKT2_PKT3_PT4_21rocsparse_index_base_b
; %bb.0:
	s_load_dwordx2 s[2:3], s[4:5], 0x40
	s_load_dwordx4 s[8:11], s[4:5], 0x0
	s_or_b32 s0, s4, 8
	s_waitcnt lgkmcnt(0)
	s_bitcmp1_b32 s3, 0
	s_cselect_b32 s1, s5, s11
	s_cselect_b32 s0, s0, s10
	v_mov_b32_e32 v1, s0
	v_mov_b32_e32 v2, s1
	flat_load_dwordx4 v[1:4], v[1:2]
	s_waitcnt vmcnt(0) lgkmcnt(0)
	v_cmp_neq_f64_e32 vcc, 0, v[1:2]
	v_cmp_neq_f64_e64 s[0:1], 0, v[3:4]
	s_or_b64 s[0:1], vcc, s[0:1]
	s_and_saveexec_b64 s[10:11], s[0:1]
	s_cbranch_execz .LBB102_46
; %bb.1:
	v_mov_b32_e32 v5, 0
	v_lshl_or_b32 v9, s6, 8, v0
	v_mov_b32_e32 v10, 0
	v_mov_b32_e32 v6, 0
	v_cmp_gt_i64_e32 vcc, s[8:9], v[9:10]
	v_mov_b32_e32 v8, v6
	v_mov_b32_e32 v13, -1
	v_mov_b32_e32 v7, v5
	s_and_saveexec_b64 s[0:1], vcc
	s_cbranch_execz .LBB102_3
; %bb.2:
	s_load_dwordx8 s[8:15], s[4:5], 0x18
	v_lshlrev_b64 v[5:6], 2, v[9:10]
	s_waitcnt lgkmcnt(0)
	v_mov_b32_e32 v8, s11
	v_add_co_u32_e32 v7, vcc, s10, v5
	v_addc_co_u32_e32 v8, vcc, v8, v6, vcc
	global_load_dword v13, v[7:8], off glc slc
	v_lshlrev_b64 v[7:8], 3, v[9:10]
	v_mov_b32_e32 v9, s13
	v_add_co_u32_e32 v7, vcc, s12, v7
	v_addc_co_u32_e32 v8, vcc, v9, v8, vcc
	global_load_dwordx2 v[11:12], v[7:8], off glc slc
	v_mov_b32_e32 v10, s15
	s_waitcnt vmcnt(1)
	v_subrev_u32_e32 v7, s2, v13
	v_ashrrev_i32_e32 v8, 31, v7
	v_lshlrev_b64 v[7:8], 4, v[7:8]
	v_mov_b32_e32 v13, s9
	v_add_co_u32_e32 v7, vcc, s14, v7
	v_addc_co_u32_e32 v8, vcc, v10, v8, vcc
	global_load_dwordx4 v[7:10], v[7:8], off
	v_add_co_u32_e32 v5, vcc, s8, v5
	v_addc_co_u32_e32 v6, vcc, v13, v6, vcc
	global_load_dword v16, v[5:6], off glc slc
	s_waitcnt vmcnt(2)
	v_cvt_f64_f32_e32 v[12:13], v12
	v_cvt_f64_f32_e32 v[5:6], v11
	s_waitcnt vmcnt(1)
	v_mul_f64 v[14:15], v[9:10], -v[12:13]
	v_mul_f64 v[9:10], v[9:10], v[5:6]
	v_fma_f64 v[5:6], v[5:6], v[7:8], v[14:15]
	v_fma_f64 v[7:8], v[12:13], v[7:8], v[9:10]
	s_waitcnt vmcnt(0)
	v_subrev_u32_e32 v13, s2, v16
.LBB102_3:
	s_or_b64 exec, exec, s[0:1]
	v_lshlrev_b32_e32 v10, 2, v0
	v_or_b32_e32 v9, 0x1000, v10
	ds_write_b32 v10, v13 offset:4096
	v_lshlrev_b32_e32 v10, 4, v0
	v_cmp_ne_u32_e32 vcc, 0, v0
	ds_write_b128 v10, v[5:8]
	s_waitcnt lgkmcnt(0)
	s_barrier
	s_and_saveexec_b64 s[0:1], vcc
	s_cbranch_execz .LBB102_7
; %bb.4:
	v_add_u32_e32 v11, -4, v9
	ds_read_b32 v11, v11
	s_waitcnt lgkmcnt(0)
	v_cmp_eq_u32_e32 vcc, v13, v11
	s_and_saveexec_b64 s[2:3], vcc
	s_cbranch_execz .LBB102_6
; %bb.5:
	v_add_u32_e32 v11, -16, v10
	ds_read_b128 v[14:17], v11
	s_waitcnt lgkmcnt(0)
	v_add_f64 v[5:6], v[5:6], v[14:15]
	v_add_f64 v[7:8], v[7:8], v[16:17]
.LBB102_6:
	s_or_b64 exec, exec, s[2:3]
.LBB102_7:
	s_or_b64 exec, exec, s[0:1]
	v_cmp_lt_u32_e32 vcc, 1, v0
	s_barrier
	ds_write_b128 v10, v[5:8]
	s_waitcnt lgkmcnt(0)
	s_barrier
	s_and_saveexec_b64 s[0:1], vcc
	s_cbranch_execz .LBB102_11
; %bb.8:
	v_add_u32_e32 v11, -8, v9
	ds_read_b32 v11, v11
	s_waitcnt lgkmcnt(0)
	v_cmp_eq_u32_e32 vcc, v13, v11
	s_and_saveexec_b64 s[2:3], vcc
	s_cbranch_execz .LBB102_10
; %bb.9:
	v_subrev_u32_e32 v11, 32, v10
	ds_read_b128 v[14:17], v11
	s_waitcnt lgkmcnt(0)
	v_add_f64 v[5:6], v[5:6], v[14:15]
	v_add_f64 v[7:8], v[7:8], v[16:17]
.LBB102_10:
	s_or_b64 exec, exec, s[2:3]
.LBB102_11:
	s_or_b64 exec, exec, s[0:1]
	v_cmp_lt_u32_e32 vcc, 3, v0
	s_barrier
	ds_write_b128 v10, v[5:8]
	s_waitcnt lgkmcnt(0)
	s_barrier
	s_and_saveexec_b64 s[0:1], vcc
	s_cbranch_execz .LBB102_15
; %bb.12:
	v_add_u32_e32 v11, -16, v9
	ds_read_b32 v11, v11
	s_waitcnt lgkmcnt(0)
	v_cmp_eq_u32_e32 vcc, v13, v11
	s_and_saveexec_b64 s[2:3], vcc
	s_cbranch_execz .LBB102_14
; %bb.13:
	v_subrev_u32_e32 v11, 64, v10
	ds_read_b128 v[14:17], v11
	s_waitcnt lgkmcnt(0)
	v_add_f64 v[5:6], v[5:6], v[14:15]
	v_add_f64 v[7:8], v[7:8], v[16:17]
.LBB102_14:
	s_or_b64 exec, exec, s[2:3]
.LBB102_15:
	s_or_b64 exec, exec, s[0:1]
	v_cmp_lt_u32_e32 vcc, 7, v0
	s_barrier
	ds_write_b128 v10, v[5:8]
	s_waitcnt lgkmcnt(0)
	s_barrier
	s_and_saveexec_b64 s[0:1], vcc
	s_cbranch_execz .LBB102_19
; %bb.16:
	v_subrev_u32_e32 v11, 32, v9
	ds_read_b32 v11, v11
	s_waitcnt lgkmcnt(0)
	v_cmp_eq_u32_e32 vcc, v13, v11
	s_and_saveexec_b64 s[2:3], vcc
	s_cbranch_execz .LBB102_18
; %bb.17:
	v_add_u32_e32 v11, 0xffffff80, v10
	ds_read_b128 v[14:17], v11
	s_waitcnt lgkmcnt(0)
	v_add_f64 v[5:6], v[5:6], v[14:15]
	v_add_f64 v[7:8], v[7:8], v[16:17]
.LBB102_18:
	s_or_b64 exec, exec, s[2:3]
.LBB102_19:
	s_or_b64 exec, exec, s[0:1]
	v_cmp_lt_u32_e32 vcc, 15, v0
	s_barrier
	ds_write_b128 v10, v[5:8]
	s_waitcnt lgkmcnt(0)
	s_barrier
	s_and_saveexec_b64 s[0:1], vcc
	s_cbranch_execz .LBB102_23
; %bb.20:
	v_subrev_u32_e32 v11, 64, v9
	ds_read_b32 v11, v11
	s_waitcnt lgkmcnt(0)
	v_cmp_eq_u32_e32 vcc, v13, v11
	s_and_saveexec_b64 s[2:3], vcc
	s_cbranch_execz .LBB102_22
; %bb.21:
	v_add_u32_e32 v11, 0xffffff00, v10
	ds_read_b128 v[14:17], v11
	s_waitcnt lgkmcnt(0)
	v_add_f64 v[5:6], v[5:6], v[14:15]
	v_add_f64 v[7:8], v[7:8], v[16:17]
.LBB102_22:
	s_or_b64 exec, exec, s[2:3]
.LBB102_23:
	s_or_b64 exec, exec, s[0:1]
	v_cmp_lt_u32_e32 vcc, 31, v0
	s_barrier
	ds_write_b128 v10, v[5:8]
	s_waitcnt lgkmcnt(0)
	s_barrier
	s_and_saveexec_b64 s[0:1], vcc
	s_cbranch_execz .LBB102_27
; %bb.24:
	v_add_u32_e32 v11, 0xffffff80, v9
	ds_read_b32 v11, v11
	s_waitcnt lgkmcnt(0)
	v_cmp_eq_u32_e32 vcc, v13, v11
	s_and_saveexec_b64 s[2:3], vcc
	s_cbranch_execz .LBB102_26
; %bb.25:
	v_add_u32_e32 v11, 0xfffffe00, v10
	ds_read_b128 v[14:17], v11
	s_waitcnt lgkmcnt(0)
	v_add_f64 v[5:6], v[5:6], v[14:15]
	v_add_f64 v[7:8], v[7:8], v[16:17]
.LBB102_26:
	s_or_b64 exec, exec, s[2:3]
.LBB102_27:
	s_or_b64 exec, exec, s[0:1]
	v_cmp_lt_u32_e32 vcc, 63, v0
	s_barrier
	ds_write_b128 v10, v[5:8]
	s_waitcnt lgkmcnt(0)
	s_barrier
	s_and_saveexec_b64 s[0:1], vcc
	s_cbranch_execz .LBB102_31
; %bb.28:
	v_add_u32_e32 v11, 0xffffff00, v9
	ds_read_b32 v11, v11
	s_waitcnt lgkmcnt(0)
	v_cmp_eq_u32_e32 vcc, v13, v11
	s_and_saveexec_b64 s[2:3], vcc
	s_cbranch_execz .LBB102_30
; %bb.29:
	v_add_u32_e32 v11, 0xfffffc00, v10
	ds_read_b128 v[14:17], v11
	s_waitcnt lgkmcnt(0)
	v_add_f64 v[5:6], v[5:6], v[14:15]
	v_add_f64 v[7:8], v[7:8], v[16:17]
.LBB102_30:
	s_or_b64 exec, exec, s[2:3]
.LBB102_31:
	s_or_b64 exec, exec, s[0:1]
	s_load_dwordx2 s[2:3], s[4:5], 0x38
	s_movk_i32 s0, 0x7f
	v_cmp_lt_u32_e32 vcc, s0, v0
	s_waitcnt lgkmcnt(0)
	s_barrier
	ds_write_b128 v10, v[5:8]
	s_waitcnt lgkmcnt(0)
	s_barrier
	s_and_saveexec_b64 s[0:1], vcc
	s_cbranch_execz .LBB102_35
; %bb.32:
	v_add_u32_e32 v11, 0xfffffe00, v9
	ds_read_b32 v11, v11
	s_waitcnt lgkmcnt(0)
	v_cmp_eq_u32_e32 vcc, v13, v11
	s_and_saveexec_b64 s[4:5], vcc
	s_cbranch_execz .LBB102_34
; %bb.33:
	v_add_u32_e32 v11, 0xfffff800, v10
	ds_read_b128 v[14:17], v11
	s_waitcnt lgkmcnt(0)
	v_add_f64 v[5:6], v[5:6], v[14:15]
	v_add_f64 v[7:8], v[7:8], v[16:17]
.LBB102_34:
	s_or_b64 exec, exec, s[4:5]
.LBB102_35:
	s_or_b64 exec, exec, s[0:1]
	s_movk_i32 s6, 0xff
	v_cmp_gt_u32_e32 vcc, s6, v0
	s_barrier
	ds_write_b128 v10, v[5:8]
	s_waitcnt lgkmcnt(0)
	s_barrier
	s_and_saveexec_b64 s[4:5], vcc
	s_cbranch_execz .LBB102_41
; %bb.36:
	ds_read_b32 v9, v9 offset:4
	v_cmp_lt_i32_e64 s[0:1], -1, v13
	s_waitcnt lgkmcnt(0)
	v_cmp_ne_u32_e32 vcc, v13, v9
	s_and_b64 s[0:1], s[0:1], vcc
	s_and_b64 exec, exec, s[0:1]
	s_cbranch_execz .LBB102_41
; %bb.37:
	v_mov_b32_e32 v14, 0
	v_lshlrev_b64 v[9:10], 4, v[13:14]
	v_mov_b32_e32 v11, s3
	v_add_co_u32_e32 v14, vcc, s2, v9
	v_addc_co_u32_e32 v15, vcc, v11, v10, vcc
	global_load_dwordx2 v[11:12], v[14:15], off
	v_mul_f64 v[9:10], v[7:8], -v[3:4]
	s_mov_b64 s[0:1], 0
	v_fma_f64 v[16:17], v[1:2], v[5:6], v[9:10]
.LBB102_38:                             ; =>This Inner Loop Header: Depth=1
	s_waitcnt vmcnt(0)
	v_add_f64 v[9:10], v[11:12], v[16:17]
	global_atomic_cmpswap_x2 v[9:10], v[14:15], v[9:12], off glc
	s_waitcnt vmcnt(0)
	v_cmp_eq_u64_e32 vcc, v[9:10], v[11:12]
	v_mov_b32_e32 v12, v10
	s_or_b64 s[0:1], vcc, s[0:1]
	v_mov_b32_e32 v11, v9
	s_andn2_b64 exec, exec, s[0:1]
	s_cbranch_execnz .LBB102_38
; %bb.39:
	s_or_b64 exec, exec, s[0:1]
	global_load_dwordx2 v[11:12], v[14:15], off offset:8
	v_mul_f64 v[9:10], v[1:2], v[7:8]
	s_mov_b64 s[0:1], 0
	v_fma_f64 v[16:17], v[3:4], v[5:6], v[9:10]
.LBB102_40:                             ; =>This Inner Loop Header: Depth=1
	s_waitcnt vmcnt(0)
	v_add_f64 v[9:10], v[11:12], v[16:17]
	global_atomic_cmpswap_x2 v[9:10], v[14:15], v[9:12], off offset:8 glc
	s_waitcnt vmcnt(0)
	v_cmp_eq_u64_e32 vcc, v[9:10], v[11:12]
	v_mov_b32_e32 v12, v10
	s_or_b64 s[0:1], vcc, s[0:1]
	v_mov_b32_e32 v11, v9
	s_andn2_b64 exec, exec, s[0:1]
	s_cbranch_execnz .LBB102_40
.LBB102_41:
	s_or_b64 exec, exec, s[4:5]
	v_cmp_eq_u32_e32 vcc, s6, v0
	v_cmp_lt_i32_e64 s[0:1], -1, v13
	s_and_b64 s[0:1], vcc, s[0:1]
	s_and_b64 exec, exec, s[0:1]
	s_cbranch_execz .LBB102_46
; %bb.42:
	v_mov_b32_e32 v14, 0
	v_lshlrev_b64 v[9:10], 4, v[13:14]
	v_mov_b32_e32 v0, s3
	v_add_co_u32_e32 v13, vcc, s2, v9
	v_addc_co_u32_e32 v14, vcc, v0, v10, vcc
	global_load_dwordx2 v[11:12], v[13:14], off
	v_mul_f64 v[9:10], v[7:8], -v[3:4]
	s_mov_b64 s[0:1], 0
	v_fma_f64 v[15:16], v[1:2], v[5:6], v[9:10]
.LBB102_43:                             ; =>This Inner Loop Header: Depth=1
	s_waitcnt vmcnt(0)
	v_add_f64 v[9:10], v[11:12], v[15:16]
	global_atomic_cmpswap_x2 v[9:10], v[13:14], v[9:12], off glc
	s_waitcnt vmcnt(0)
	v_cmp_eq_u64_e32 vcc, v[9:10], v[11:12]
	v_mov_b32_e32 v12, v10
	s_or_b64 s[0:1], vcc, s[0:1]
	v_mov_b32_e32 v11, v9
	s_andn2_b64 exec, exec, s[0:1]
	s_cbranch_execnz .LBB102_43
; %bb.44:
	s_or_b64 exec, exec, s[0:1]
	global_load_dwordx2 v[9:10], v[13:14], off offset:8
	v_mul_f64 v[0:1], v[1:2], v[7:8]
	s_mov_b64 s[0:1], 0
	v_fma_f64 v[0:1], v[3:4], v[5:6], v[0:1]
.LBB102_45:                             ; =>This Inner Loop Header: Depth=1
	s_waitcnt vmcnt(0)
	v_add_f64 v[7:8], v[9:10], v[0:1]
	global_atomic_cmpswap_x2 v[2:3], v[13:14], v[7:10], off offset:8 glc
	s_waitcnt vmcnt(0)
	v_cmp_eq_u64_e32 vcc, v[2:3], v[9:10]
	v_mov_b32_e32 v10, v3
	s_or_b64 s[0:1], vcc, s[0:1]
	v_mov_b32_e32 v9, v2
	s_andn2_b64 exec, exec, s[0:1]
	s_cbranch_execnz .LBB102_45
.LBB102_46:
	s_endpgm
	.section	.rodata,"a",@progbits
	.p2align	6, 0x0
	.amdhsa_kernel _ZN9rocsparseL19coomvn_atomic_loopsILj256ELj1Ei21rocsparse_complex_numIfES1_IdES3_S3_EEvlNS_24const_host_device_scalarIT5_EEPKT1_S9_PKT2_PKT3_PT4_21rocsparse_index_base_b
		.amdhsa_group_segment_fixed_size 5120
		.amdhsa_private_segment_fixed_size 0
		.amdhsa_kernarg_size 72
		.amdhsa_user_sgpr_count 6
		.amdhsa_user_sgpr_private_segment_buffer 1
		.amdhsa_user_sgpr_dispatch_ptr 0
		.amdhsa_user_sgpr_queue_ptr 0
		.amdhsa_user_sgpr_kernarg_segment_ptr 1
		.amdhsa_user_sgpr_dispatch_id 0
		.amdhsa_user_sgpr_flat_scratch_init 0
		.amdhsa_user_sgpr_private_segment_size 0
		.amdhsa_uses_dynamic_stack 0
		.amdhsa_system_sgpr_private_segment_wavefront_offset 0
		.amdhsa_system_sgpr_workgroup_id_x 1
		.amdhsa_system_sgpr_workgroup_id_y 0
		.amdhsa_system_sgpr_workgroup_id_z 0
		.amdhsa_system_sgpr_workgroup_info 0
		.amdhsa_system_vgpr_workitem_id 0
		.amdhsa_next_free_vgpr 18
		.amdhsa_next_free_sgpr 16
		.amdhsa_reserve_vcc 1
		.amdhsa_reserve_flat_scratch 0
		.amdhsa_float_round_mode_32 0
		.amdhsa_float_round_mode_16_64 0
		.amdhsa_float_denorm_mode_32 3
		.amdhsa_float_denorm_mode_16_64 3
		.amdhsa_dx10_clamp 1
		.amdhsa_ieee_mode 1
		.amdhsa_fp16_overflow 0
		.amdhsa_exception_fp_ieee_invalid_op 0
		.amdhsa_exception_fp_denorm_src 0
		.amdhsa_exception_fp_ieee_div_zero 0
		.amdhsa_exception_fp_ieee_overflow 0
		.amdhsa_exception_fp_ieee_underflow 0
		.amdhsa_exception_fp_ieee_inexact 0
		.amdhsa_exception_int_div_zero 0
	.end_amdhsa_kernel
	.section	.text._ZN9rocsparseL19coomvn_atomic_loopsILj256ELj1Ei21rocsparse_complex_numIfES1_IdES3_S3_EEvlNS_24const_host_device_scalarIT5_EEPKT1_S9_PKT2_PKT3_PT4_21rocsparse_index_base_b,"axG",@progbits,_ZN9rocsparseL19coomvn_atomic_loopsILj256ELj1Ei21rocsparse_complex_numIfES1_IdES3_S3_EEvlNS_24const_host_device_scalarIT5_EEPKT1_S9_PKT2_PKT3_PT4_21rocsparse_index_base_b,comdat
.Lfunc_end102:
	.size	_ZN9rocsparseL19coomvn_atomic_loopsILj256ELj1Ei21rocsparse_complex_numIfES1_IdES3_S3_EEvlNS_24const_host_device_scalarIT5_EEPKT1_S9_PKT2_PKT3_PT4_21rocsparse_index_base_b, .Lfunc_end102-_ZN9rocsparseL19coomvn_atomic_loopsILj256ELj1Ei21rocsparse_complex_numIfES1_IdES3_S3_EEvlNS_24const_host_device_scalarIT5_EEPKT1_S9_PKT2_PKT3_PT4_21rocsparse_index_base_b
                                        ; -- End function
	.set _ZN9rocsparseL19coomvn_atomic_loopsILj256ELj1Ei21rocsparse_complex_numIfES1_IdES3_S3_EEvlNS_24const_host_device_scalarIT5_EEPKT1_S9_PKT2_PKT3_PT4_21rocsparse_index_base_b.num_vgpr, 18
	.set _ZN9rocsparseL19coomvn_atomic_loopsILj256ELj1Ei21rocsparse_complex_numIfES1_IdES3_S3_EEvlNS_24const_host_device_scalarIT5_EEPKT1_S9_PKT2_PKT3_PT4_21rocsparse_index_base_b.num_agpr, 0
	.set _ZN9rocsparseL19coomvn_atomic_loopsILj256ELj1Ei21rocsparse_complex_numIfES1_IdES3_S3_EEvlNS_24const_host_device_scalarIT5_EEPKT1_S9_PKT2_PKT3_PT4_21rocsparse_index_base_b.numbered_sgpr, 16
	.set _ZN9rocsparseL19coomvn_atomic_loopsILj256ELj1Ei21rocsparse_complex_numIfES1_IdES3_S3_EEvlNS_24const_host_device_scalarIT5_EEPKT1_S9_PKT2_PKT3_PT4_21rocsparse_index_base_b.num_named_barrier, 0
	.set _ZN9rocsparseL19coomvn_atomic_loopsILj256ELj1Ei21rocsparse_complex_numIfES1_IdES3_S3_EEvlNS_24const_host_device_scalarIT5_EEPKT1_S9_PKT2_PKT3_PT4_21rocsparse_index_base_b.private_seg_size, 0
	.set _ZN9rocsparseL19coomvn_atomic_loopsILj256ELj1Ei21rocsparse_complex_numIfES1_IdES3_S3_EEvlNS_24const_host_device_scalarIT5_EEPKT1_S9_PKT2_PKT3_PT4_21rocsparse_index_base_b.uses_vcc, 1
	.set _ZN9rocsparseL19coomvn_atomic_loopsILj256ELj1Ei21rocsparse_complex_numIfES1_IdES3_S3_EEvlNS_24const_host_device_scalarIT5_EEPKT1_S9_PKT2_PKT3_PT4_21rocsparse_index_base_b.uses_flat_scratch, 0
	.set _ZN9rocsparseL19coomvn_atomic_loopsILj256ELj1Ei21rocsparse_complex_numIfES1_IdES3_S3_EEvlNS_24const_host_device_scalarIT5_EEPKT1_S9_PKT2_PKT3_PT4_21rocsparse_index_base_b.has_dyn_sized_stack, 0
	.set _ZN9rocsparseL19coomvn_atomic_loopsILj256ELj1Ei21rocsparse_complex_numIfES1_IdES3_S3_EEvlNS_24const_host_device_scalarIT5_EEPKT1_S9_PKT2_PKT3_PT4_21rocsparse_index_base_b.has_recursion, 0
	.set _ZN9rocsparseL19coomvn_atomic_loopsILj256ELj1Ei21rocsparse_complex_numIfES1_IdES3_S3_EEvlNS_24const_host_device_scalarIT5_EEPKT1_S9_PKT2_PKT3_PT4_21rocsparse_index_base_b.has_indirect_call, 0
	.section	.AMDGPU.csdata,"",@progbits
; Kernel info:
; codeLenInByte = 1644
; TotalNumSgprs: 20
; NumVgprs: 18
; ScratchSize: 0
; MemoryBound: 0
; FloatMode: 240
; IeeeMode: 1
; LDSByteSize: 5120 bytes/workgroup (compile time only)
; SGPRBlocks: 2
; VGPRBlocks: 4
; NumSGPRsForWavesPerEU: 20
; NumVGPRsForWavesPerEU: 18
; Occupancy: 10
; WaveLimiterHint : 1
; COMPUTE_PGM_RSRC2:SCRATCH_EN: 0
; COMPUTE_PGM_RSRC2:USER_SGPR: 6
; COMPUTE_PGM_RSRC2:TRAP_HANDLER: 0
; COMPUTE_PGM_RSRC2:TGID_X_EN: 1
; COMPUTE_PGM_RSRC2:TGID_Y_EN: 0
; COMPUTE_PGM_RSRC2:TGID_Z_EN: 0
; COMPUTE_PGM_RSRC2:TIDIG_COMP_CNT: 0
	.section	.text._ZN9rocsparseL19coomvn_atomic_loopsILj256ELj2Ei21rocsparse_complex_numIfES1_IdES3_S3_EEvlNS_24const_host_device_scalarIT5_EEPKT1_S9_PKT2_PKT3_PT4_21rocsparse_index_base_b,"axG",@progbits,_ZN9rocsparseL19coomvn_atomic_loopsILj256ELj2Ei21rocsparse_complex_numIfES1_IdES3_S3_EEvlNS_24const_host_device_scalarIT5_EEPKT1_S9_PKT2_PKT3_PT4_21rocsparse_index_base_b,comdat
	.globl	_ZN9rocsparseL19coomvn_atomic_loopsILj256ELj2Ei21rocsparse_complex_numIfES1_IdES3_S3_EEvlNS_24const_host_device_scalarIT5_EEPKT1_S9_PKT2_PKT3_PT4_21rocsparse_index_base_b ; -- Begin function _ZN9rocsparseL19coomvn_atomic_loopsILj256ELj2Ei21rocsparse_complex_numIfES1_IdES3_S3_EEvlNS_24const_host_device_scalarIT5_EEPKT1_S9_PKT2_PKT3_PT4_21rocsparse_index_base_b
	.p2align	8
	.type	_ZN9rocsparseL19coomvn_atomic_loopsILj256ELj2Ei21rocsparse_complex_numIfES1_IdES3_S3_EEvlNS_24const_host_device_scalarIT5_EEPKT1_S9_PKT2_PKT3_PT4_21rocsparse_index_base_b,@function
_ZN9rocsparseL19coomvn_atomic_loopsILj256ELj2Ei21rocsparse_complex_numIfES1_IdES3_S3_EEvlNS_24const_host_device_scalarIT5_EEPKT1_S9_PKT2_PKT3_PT4_21rocsparse_index_base_b: ; @_ZN9rocsparseL19coomvn_atomic_loopsILj256ELj2Ei21rocsparse_complex_numIfES1_IdES3_S3_EEvlNS_24const_host_device_scalarIT5_EEPKT1_S9_PKT2_PKT3_PT4_21rocsparse_index_base_b
; %bb.0:
	s_load_dwordx2 s[34:35], s[4:5], 0x40
	s_load_dwordx4 s[36:39], s[4:5], 0x0
	s_or_b32 s0, s4, 8
	s_waitcnt lgkmcnt(0)
	s_bitcmp1_b32 s35, 0
	s_cselect_b32 s1, s5, s39
	s_cselect_b32 s0, s0, s38
	v_mov_b32_e32 v1, s0
	v_mov_b32_e32 v2, s1
	flat_load_dwordx4 v[1:4], v[1:2]
	s_waitcnt vmcnt(0) lgkmcnt(0)
	v_cmp_neq_f64_e32 vcc, 0, v[1:2]
	v_cmp_neq_f64_e64 s[0:1], 0, v[3:4]
	s_or_b64 s[0:1], vcc, s[0:1]
	s_and_saveexec_b64 s[2:3], s[0:1]
	s_cbranch_execz .LBB103_105
; %bb.1:
	s_load_dwordx8 s[24:31], s[4:5], 0x18
	v_mov_b32_e32 v5, 0
	v_lshl_or_b32 v17, s6, 9, v0
	v_mov_b32_e32 v18, 0
	v_mov_b32_e32 v6, 0
	v_cmp_gt_i64_e32 vcc, s[36:37], v[17:18]
	v_lshlrev_b64 v[13:14], 2, v[17:18]
	v_lshlrev_b64 v[15:16], 3, v[17:18]
	v_mov_b32_e32 v8, v6
	v_mov_b32_e32 v9, -1
	v_mov_b32_e32 v7, v5
	s_and_saveexec_b64 s[0:1], vcc
	s_cbranch_execz .LBB103_3
; %bb.2:
	s_waitcnt lgkmcnt(0)
	v_mov_b32_e32 v6, s27
	v_add_co_u32_e32 v5, vcc, s26, v13
	v_addc_co_u32_e32 v6, vcc, v6, v14, vcc
	global_load_dword v7, v[5:6], off glc slc
	v_mov_b32_e32 v6, s29
	v_add_co_u32_e32 v5, vcc, s28, v15
	v_addc_co_u32_e32 v6, vcc, v6, v16, vcc
	global_load_dwordx2 v[5:6], v[5:6], off glc slc
	v_mov_b32_e32 v9, s31
	v_mov_b32_e32 v12, s25
	s_waitcnt vmcnt(1)
	v_subrev_u32_e32 v7, s34, v7
	v_ashrrev_i32_e32 v8, 31, v7
	v_lshlrev_b64 v[7:8], 4, v[7:8]
	v_add_co_u32_e32 v7, vcc, s30, v7
	v_addc_co_u32_e32 v8, vcc, v9, v8, vcc
	global_load_dwordx4 v[7:10], v[7:8], off
	v_add_co_u32_e32 v11, vcc, s24, v13
	v_addc_co_u32_e32 v12, vcc, v12, v14, vcc
	global_load_dword v20, v[11:12], off glc slc
	s_waitcnt vmcnt(2)
	v_cvt_f64_f32_e32 v[11:12], v6
	v_cvt_f64_f32_e32 v[5:6], v5
	s_waitcnt vmcnt(1)
	v_mul_f64 v[18:19], v[9:10], -v[11:12]
	v_mul_f64 v[9:10], v[9:10], v[5:6]
	v_fma_f64 v[5:6], v[5:6], v[7:8], v[18:19]
	v_fma_f64 v[7:8], v[11:12], v[7:8], v[9:10]
	s_waitcnt vmcnt(0)
	v_subrev_u32_e32 v9, s34, v20
.LBB103_3:
	s_or_b64 exec, exec, s[0:1]
	v_lshlrev_b32_e32 v10, 2, v0
	v_or_b32_e32 v22, 0x1000, v10
	v_lshlrev_b32_e32 v23, 4, v0
	v_cmp_eq_u32_e64 s[18:19], 0, v0
	v_cmp_ne_u32_e64 s[0:1], 0, v0
	v_add_u32_e32 v24, -4, v22
	ds_write_b32 v10, v9 offset:4096
	ds_write_b128 v23, v[5:8]
	s_waitcnt lgkmcnt(0)
	s_barrier
	s_and_saveexec_b64 s[2:3], s[0:1]
	s_cbranch_execz .LBB103_7
; %bb.4:
	ds_read_b32 v10, v24
	s_waitcnt lgkmcnt(0)
	v_cmp_eq_u32_e32 vcc, v9, v10
	s_and_saveexec_b64 s[6:7], vcc
	s_cbranch_execz .LBB103_6
; %bb.5:
	v_add_u32_e32 v10, -16, v23
	ds_read_b128 v[18:21], v10
	s_waitcnt lgkmcnt(0)
	v_add_f64 v[5:6], v[5:6], v[18:19]
	v_add_f64 v[7:8], v[7:8], v[20:21]
.LBB103_6:
	s_or_b64 exec, exec, s[6:7]
.LBB103_7:
	s_or_b64 exec, exec, s[2:3]
	v_cmp_lt_u32_e64 s[2:3], 1, v0
	v_add_u32_e32 v25, -8, v22
	s_barrier
	ds_write_b128 v23, v[5:8]
	s_waitcnt lgkmcnt(0)
	s_barrier
	s_and_saveexec_b64 s[6:7], s[2:3]
	s_cbranch_execz .LBB103_11
; %bb.8:
	ds_read_b32 v10, v25
	s_waitcnt lgkmcnt(0)
	v_cmp_eq_u32_e32 vcc, v9, v10
	s_and_saveexec_b64 s[8:9], vcc
	s_cbranch_execz .LBB103_10
; %bb.9:
	v_subrev_u32_e32 v10, 32, v23
	ds_read_b128 v[18:21], v10
	s_waitcnt lgkmcnt(0)
	v_add_f64 v[5:6], v[5:6], v[18:19]
	v_add_f64 v[7:8], v[7:8], v[20:21]
.LBB103_10:
	s_or_b64 exec, exec, s[8:9]
.LBB103_11:
	s_or_b64 exec, exec, s[6:7]
	v_cmp_lt_u32_e64 s[20:21], 3, v0
	v_add_u32_e32 v26, -16, v22
	s_barrier
	ds_write_b128 v23, v[5:8]
	s_waitcnt lgkmcnt(0)
	s_barrier
	s_and_saveexec_b64 s[6:7], s[20:21]
	s_cbranch_execz .LBB103_15
; %bb.12:
	ds_read_b32 v10, v26
	s_waitcnt lgkmcnt(0)
	v_cmp_eq_u32_e32 vcc, v9, v10
	s_and_saveexec_b64 s[8:9], vcc
	s_cbranch_execz .LBB103_14
; %bb.13:
	v_subrev_u32_e32 v10, 64, v23
	ds_read_b128 v[18:21], v10
	s_waitcnt lgkmcnt(0)
	v_add_f64 v[5:6], v[5:6], v[18:19]
	v_add_f64 v[7:8], v[7:8], v[20:21]
.LBB103_14:
	s_or_b64 exec, exec, s[8:9]
.LBB103_15:
	s_or_b64 exec, exec, s[6:7]
	v_cmp_lt_u32_e64 s[6:7], 7, v0
	v_subrev_u32_e32 v27, 32, v22
	s_barrier
	ds_write_b128 v23, v[5:8]
	s_waitcnt lgkmcnt(0)
	s_barrier
	s_and_saveexec_b64 s[8:9], s[6:7]
	s_cbranch_execz .LBB103_19
; %bb.16:
	ds_read_b32 v10, v27
	s_waitcnt lgkmcnt(0)
	v_cmp_eq_u32_e32 vcc, v9, v10
	s_and_saveexec_b64 s[10:11], vcc
	s_cbranch_execz .LBB103_18
; %bb.17:
	v_add_u32_e32 v10, 0xffffff80, v23
	ds_read_b128 v[18:21], v10
	s_waitcnt lgkmcnt(0)
	v_add_f64 v[5:6], v[5:6], v[18:19]
	v_add_f64 v[7:8], v[7:8], v[20:21]
.LBB103_18:
	s_or_b64 exec, exec, s[10:11]
.LBB103_19:
	s_or_b64 exec, exec, s[8:9]
	v_cmp_lt_u32_e64 s[8:9], 15, v0
	v_subrev_u32_e32 v28, 64, v22
	s_barrier
	ds_write_b128 v23, v[5:8]
	s_waitcnt lgkmcnt(0)
	s_barrier
	s_and_saveexec_b64 s[10:11], s[8:9]
	s_cbranch_execz .LBB103_23
; %bb.20:
	ds_read_b32 v10, v28
	s_waitcnt lgkmcnt(0)
	v_cmp_eq_u32_e32 vcc, v9, v10
	s_and_saveexec_b64 s[12:13], vcc
	s_cbranch_execz .LBB103_22
; %bb.21:
	v_add_u32_e32 v10, 0xffffff00, v23
	ds_read_b128 v[18:21], v10
	s_waitcnt lgkmcnt(0)
	v_add_f64 v[5:6], v[5:6], v[18:19]
	v_add_f64 v[7:8], v[7:8], v[20:21]
.LBB103_22:
	s_or_b64 exec, exec, s[12:13]
.LBB103_23:
	s_or_b64 exec, exec, s[10:11]
	v_cmp_lt_u32_e64 s[10:11], 31, v0
	s_barrier
	ds_write_b128 v23, v[5:8]
	s_waitcnt lgkmcnt(0)
	s_barrier
	s_and_saveexec_b64 s[12:13], s[10:11]
	s_cbranch_execz .LBB103_27
; %bb.24:
	v_add_u32_e32 v10, 0xffffff80, v22
	ds_read_b32 v10, v10
	s_waitcnt lgkmcnt(0)
	v_cmp_eq_u32_e32 vcc, v9, v10
	s_and_saveexec_b64 s[14:15], vcc
	s_cbranch_execz .LBB103_26
; %bb.25:
	v_add_u32_e32 v10, 0xfffffe00, v23
	ds_read_b128 v[18:21], v10
	s_waitcnt lgkmcnt(0)
	v_add_f64 v[5:6], v[5:6], v[18:19]
	v_add_f64 v[7:8], v[7:8], v[20:21]
.LBB103_26:
	s_or_b64 exec, exec, s[14:15]
.LBB103_27:
	s_or_b64 exec, exec, s[12:13]
	v_cmp_lt_u32_e64 s[12:13], 63, v0
	s_barrier
	ds_write_b128 v23, v[5:8]
	s_waitcnt lgkmcnt(0)
	s_barrier
	s_and_saveexec_b64 s[14:15], s[12:13]
	s_cbranch_execz .LBB103_31
; %bb.28:
	v_add_u32_e32 v10, 0xffffff00, v22
	ds_read_b32 v10, v10
	s_waitcnt lgkmcnt(0)
	v_cmp_eq_u32_e32 vcc, v9, v10
	s_and_saveexec_b64 s[16:17], vcc
	s_cbranch_execz .LBB103_30
; %bb.29:
	v_add_u32_e32 v10, 0xfffffc00, v23
	ds_read_b128 v[18:21], v10
	s_waitcnt lgkmcnt(0)
	v_add_f64 v[5:6], v[5:6], v[18:19]
	v_add_f64 v[7:8], v[7:8], v[20:21]
.LBB103_30:
	s_or_b64 exec, exec, s[16:17]
.LBB103_31:
	s_or_b64 exec, exec, s[14:15]
	s_load_dwordx2 s[22:23], s[4:5], 0x38
	s_movk_i32 s4, 0x7f
	v_cmp_lt_u32_e64 s[14:15], s4, v0
	s_waitcnt lgkmcnt(0)
	s_barrier
	ds_write_b128 v23, v[5:8]
	s_waitcnt lgkmcnt(0)
	s_barrier
	s_and_saveexec_b64 s[4:5], s[14:15]
	s_cbranch_execz .LBB103_35
; %bb.32:
	v_add_u32_e32 v10, 0xfffffe00, v22
	ds_read_b32 v10, v10
	s_waitcnt lgkmcnt(0)
	v_cmp_eq_u32_e32 vcc, v9, v10
	s_and_saveexec_b64 s[16:17], vcc
	s_cbranch_execz .LBB103_34
; %bb.33:
	v_add_u32_e32 v10, 0xfffff800, v23
	ds_read_b128 v[18:21], v10
	s_waitcnt lgkmcnt(0)
	v_add_f64 v[5:6], v[5:6], v[18:19]
	v_add_f64 v[7:8], v[7:8], v[20:21]
.LBB103_34:
	s_or_b64 exec, exec, s[16:17]
.LBB103_35:
	s_or_b64 exec, exec, s[4:5]
	s_movk_i32 s4, 0xff
	v_cmp_gt_u32_e64 s[16:17], s4, v0
	s_barrier
	ds_write_b128 v23, v[5:8]
	s_waitcnt lgkmcnt(0)
	s_barrier
	s_and_saveexec_b64 s[38:39], s[16:17]
	s_cbranch_execz .LBB103_41
; %bb.36:
	ds_read_b32 v10, v22 offset:4
	v_cmp_lt_i32_e64 s[4:5], -1, v9
	s_waitcnt lgkmcnt(0)
	v_cmp_ne_u32_e32 vcc, v9, v10
	s_and_b64 s[4:5], s[4:5], vcc
	s_and_b64 exec, exec, s[4:5]
	s_cbranch_execz .LBB103_41
; %bb.37:
	v_mov_b32_e32 v10, 0
	v_lshlrev_b64 v[9:10], 4, v[9:10]
	v_mov_b32_e32 v11, s23
	v_add_co_u32_e32 v18, vcc, s22, v9
	v_addc_co_u32_e32 v19, vcc, v11, v10, vcc
	global_load_dwordx2 v[11:12], v[18:19], off
	v_mul_f64 v[9:10], v[7:8], -v[3:4]
	s_mov_b64 s[4:5], 0
	v_fma_f64 v[20:21], v[1:2], v[5:6], v[9:10]
.LBB103_38:                             ; =>This Inner Loop Header: Depth=1
	s_waitcnt vmcnt(0)
	v_add_f64 v[9:10], v[11:12], v[20:21]
	global_atomic_cmpswap_x2 v[9:10], v[18:19], v[9:12], off glc
	s_waitcnt vmcnt(0)
	v_cmp_eq_u64_e32 vcc, v[9:10], v[11:12]
	v_mov_b32_e32 v12, v10
	s_or_b64 s[4:5], vcc, s[4:5]
	v_mov_b32_e32 v11, v9
	s_andn2_b64 exec, exec, s[4:5]
	s_cbranch_execnz .LBB103_38
; %bb.39:
	s_or_b64 exec, exec, s[4:5]
	global_load_dwordx2 v[9:10], v[18:19], off offset:8
	v_mul_f64 v[7:8], v[1:2], v[7:8]
	s_mov_b64 s[4:5], 0
	v_fma_f64 v[5:6], v[3:4], v[5:6], v[7:8]
.LBB103_40:                             ; =>This Inner Loop Header: Depth=1
	s_waitcnt vmcnt(0)
	v_add_f64 v[7:8], v[9:10], v[5:6]
	global_atomic_cmpswap_x2 v[7:8], v[18:19], v[7:10], off offset:8 glc
	s_waitcnt vmcnt(0)
	v_cmp_eq_u64_e32 vcc, v[7:8], v[9:10]
	v_mov_b32_e32 v10, v8
	s_or_b64 s[4:5], vcc, s[4:5]
	v_mov_b32_e32 v9, v7
	s_andn2_b64 exec, exec, s[4:5]
	s_cbranch_execnz .LBB103_40
.LBB103_41:
	s_or_b64 exec, exec, s[38:39]
	v_add_co_u32_e32 v5, vcc, 0x100, v17
	v_addc_co_u32_e64 v6, s[4:5], 0, 0, vcc
	v_cmp_gt_i64_e32 vcc, s[36:37], v[5:6]
	v_mov_b32_e32 v5, 0
	v_mov_b32_e32 v7, 0
	;; [unrolled: 1-line block ×4, first 2 shown]
	v_mov_b32_e32 v17, -1
	s_and_saveexec_b64 s[4:5], vcc
	s_cbranch_execz .LBB103_43
; %bb.42:
	v_mov_b32_e32 v6, s27
	v_add_co_u32_e32 v5, vcc, s26, v13
	v_addc_co_u32_e32 v6, vcc, v6, v14, vcc
	global_load_dword v7, v[5:6], off offset:1024 glc slc
	v_mov_b32_e32 v6, s29
	v_add_co_u32_e32 v5, vcc, s28, v15
	v_addc_co_u32_e32 v6, vcc, v6, v16, vcc
	global_load_dwordx2 v[5:6], v[5:6], off offset:2048 glc slc
	v_mov_b32_e32 v9, s31
	v_mov_b32_e32 v12, s25
	s_waitcnt vmcnt(1)
	v_subrev_u32_e32 v7, s34, v7
	v_ashrrev_i32_e32 v8, 31, v7
	v_lshlrev_b64 v[7:8], 4, v[7:8]
	v_add_co_u32_e32 v7, vcc, s30, v7
	v_addc_co_u32_e32 v8, vcc, v9, v8, vcc
	global_load_dwordx4 v[7:10], v[7:8], off
	v_add_co_u32_e32 v11, vcc, s24, v13
	v_addc_co_u32_e32 v12, vcc, v12, v14, vcc
	global_load_dword v15, v[11:12], off offset:1024 glc slc
	s_waitcnt vmcnt(2)
	v_cvt_f64_f32_e32 v[11:12], v6
	v_cvt_f64_f32_e32 v[5:6], v5
	s_waitcnt vmcnt(1)
	v_mul_f64 v[13:14], v[9:10], -v[11:12]
	v_mul_f64 v[9:10], v[9:10], v[5:6]
	s_waitcnt vmcnt(0)
	v_subrev_u32_e32 v17, s34, v15
	v_fma_f64 v[5:6], v[5:6], v[7:8], v[13:14]
	v_fma_f64 v[7:8], v[11:12], v[7:8], v[9:10]
.LBB103_43:
	s_or_b64 exec, exec, s[4:5]
	s_and_saveexec_b64 s[4:5], s[18:19]
	s_cbranch_execz .LBB103_62
; %bb.44:
	v_mov_b32_e32 v9, 0
	ds_read_b32 v9, v9 offset:5116
	s_waitcnt lgkmcnt(0)
	v_readfirstlane_b32 s24, v9
	v_cmp_ne_u32_e32 vcc, v17, v9
	s_and_saveexec_b64 s[18:19], vcc
	s_xor_b64 s[18:19], exec, s[18:19]
	s_cbranch_execz .LBB103_59
; %bb.45:
	s_cmp_lt_i32 s24, 0
	s_cbranch_scc1 .LBB103_59
; %bb.46:
	v_mov_b32_e32 v9, 0
	ds_read_b128 v[9:12], v9 offset:4080
	v_mov_b32_e32 v18, 0
	s_mov_b64 s[26:27], exec
	v_bfrev_b32_e32 v19, 1
	s_waitcnt lgkmcnt(0)
	v_mul_f64 v[13:14], v[11:12], -v[3:4]
	v_fma_f64 v[13:14], v[1:2], v[9:10], v[13:14]
.LBB103_47:                             ; =>This Inner Loop Header: Depth=1
	s_ff1_i32_b64 s25, s[26:27]
	v_readlane_b32 s29, v14, s25
	v_readlane_b32 s28, v13, s25
	v_add_f64 v[18:19], v[18:19], s[28:29]
	s_lshl_b64 s[28:29], 1, s25
	s_andn2_b64 s[26:27], s[26:27], s[28:29]
	s_cmp_lg_u64 s[26:27], 0
	s_cbranch_scc1 .LBB103_47
; %bb.48:
	s_mov_b32 s25, 0
	s_lshl_b64 s[24:25], s[24:25], 4
	v_mbcnt_lo_u32_b32 v13, exec_lo, 0
	s_add_u32 s24, s22, s24
	v_mbcnt_hi_u32_b32 v13, exec_hi, v13
	s_addc_u32 s25, s23, s25
	v_cmp_eq_u32_e32 vcc, 0, v13
	s_and_saveexec_b64 s[26:27], vcc
	s_xor_b64 s[26:27], exec, s[26:27]
	s_cbranch_execz .LBB103_52
; %bb.49:
	v_mov_b32_e32 v20, 0
	global_load_dwordx2 v[15:16], v20, s[24:25]
	s_mov_b64 s[28:29], 0
.LBB103_50:                             ; =>This Inner Loop Header: Depth=1
	s_waitcnt vmcnt(0)
	v_add_f64 v[13:14], v[15:16], v[18:19]
	global_atomic_cmpswap_x2 v[13:14], v20, v[13:16], s[24:25] glc
	s_waitcnt vmcnt(0)
	v_cmp_eq_u64_e32 vcc, v[13:14], v[15:16]
	v_mov_b32_e32 v16, v14
	s_or_b64 s[28:29], vcc, s[28:29]
	v_mov_b32_e32 v15, v13
	s_andn2_b64 exec, exec, s[28:29]
	s_cbranch_execnz .LBB103_50
; %bb.51:
	s_or_b64 exec, exec, s[28:29]
.LBB103_52:
	s_or_b64 exec, exec, s[26:27]
	v_mul_f64 v[11:12], v[1:2], v[11:12]
	v_mov_b32_e32 v13, 0
	s_mov_b64 s[26:27], exec
	v_bfrev_b32_e32 v14, 1
	v_fma_f64 v[9:10], v[3:4], v[9:10], v[11:12]
.LBB103_53:                             ; =>This Inner Loop Header: Depth=1
	s_ff1_i32_b64 s30, s[26:27]
	v_readlane_b32 s29, v10, s30
	v_readlane_b32 s28, v9, s30
	v_add_f64 v[13:14], v[13:14], s[28:29]
	s_lshl_b64 s[28:29], 1, s30
	s_andn2_b64 s[26:27], s[26:27], s[28:29]
	s_cmp_lg_u64 s[26:27], 0
	s_cbranch_scc1 .LBB103_53
; %bb.54:
	v_mbcnt_lo_u32_b32 v9, exec_lo, 0
	v_mbcnt_hi_u32_b32 v9, exec_hi, v9
	v_cmp_eq_u32_e32 vcc, 0, v9
	s_and_saveexec_b64 s[26:27], vcc
	s_xor_b64 s[26:27], exec, s[26:27]
	s_cbranch_execz .LBB103_58
; %bb.55:
	v_mov_b32_e32 v15, 0
	global_load_dwordx2 v[11:12], v15, s[24:25] offset:8
	s_mov_b64 s[28:29], 0
.LBB103_56:                             ; =>This Inner Loop Header: Depth=1
	s_waitcnt vmcnt(0)
	v_add_f64 v[9:10], v[11:12], v[13:14]
	global_atomic_cmpswap_x2 v[9:10], v15, v[9:12], s[24:25] offset:8 glc
	s_waitcnt vmcnt(0)
	v_cmp_eq_u64_e32 vcc, v[9:10], v[11:12]
	v_mov_b32_e32 v12, v10
	s_or_b64 s[28:29], vcc, s[28:29]
	v_mov_b32_e32 v11, v9
	s_andn2_b64 exec, exec, s[28:29]
	s_cbranch_execnz .LBB103_56
; %bb.57:
	s_or_b64 exec, exec, s[28:29]
.LBB103_58:
	s_or_b64 exec, exec, s[26:27]
.LBB103_59:
	s_andn2_saveexec_b64 s[18:19], s[18:19]
	s_cbranch_execz .LBB103_61
; %bb.60:
	v_mov_b32_e32 v9, 0
	ds_read_b128 v[9:12], v9 offset:4080
	s_waitcnt lgkmcnt(0)
	v_add_f64 v[5:6], v[5:6], v[9:10]
	v_add_f64 v[7:8], v[7:8], v[11:12]
.LBB103_61:
	s_or_b64 exec, exec, s[18:19]
.LBB103_62:
	s_or_b64 exec, exec, s[4:5]
	s_barrier
	ds_write_b32 v22, v17
	ds_write_b128 v23, v[5:8]
	s_waitcnt lgkmcnt(0)
	s_barrier
	s_and_saveexec_b64 s[4:5], s[0:1]
	s_cbranch_execz .LBB103_66
; %bb.63:
	ds_read_b32 v9, v24
	s_waitcnt lgkmcnt(0)
	v_cmp_eq_u32_e32 vcc, v17, v9
	s_and_saveexec_b64 s[0:1], vcc
	s_cbranch_execz .LBB103_65
; %bb.64:
	v_add_u32_e32 v9, -16, v23
	ds_read_b128 v[9:12], v9
	s_waitcnt lgkmcnt(0)
	v_add_f64 v[5:6], v[5:6], v[9:10]
	v_add_f64 v[7:8], v[7:8], v[11:12]
.LBB103_65:
	s_or_b64 exec, exec, s[0:1]
.LBB103_66:
	s_or_b64 exec, exec, s[4:5]
	s_barrier
	ds_write_b128 v23, v[5:8]
	s_waitcnt lgkmcnt(0)
	s_barrier
	s_and_saveexec_b64 s[0:1], s[2:3]
	s_cbranch_execz .LBB103_70
; %bb.67:
	ds_read_b32 v9, v25
	s_waitcnt lgkmcnt(0)
	v_cmp_eq_u32_e32 vcc, v17, v9
	s_and_saveexec_b64 s[2:3], vcc
	s_cbranch_execz .LBB103_69
; %bb.68:
	v_subrev_u32_e32 v9, 32, v23
	ds_read_b128 v[9:12], v9
	s_waitcnt lgkmcnt(0)
	v_add_f64 v[5:6], v[5:6], v[9:10]
	v_add_f64 v[7:8], v[7:8], v[11:12]
.LBB103_69:
	s_or_b64 exec, exec, s[2:3]
.LBB103_70:
	s_or_b64 exec, exec, s[0:1]
	s_barrier
	ds_write_b128 v23, v[5:8]
	s_waitcnt lgkmcnt(0)
	s_barrier
	s_and_saveexec_b64 s[0:1], s[20:21]
	s_cbranch_execz .LBB103_74
; %bb.71:
	ds_read_b32 v9, v26
	s_waitcnt lgkmcnt(0)
	v_cmp_eq_u32_e32 vcc, v17, v9
	s_and_saveexec_b64 s[2:3], vcc
	s_cbranch_execz .LBB103_73
; %bb.72:
	v_subrev_u32_e32 v9, 64, v23
	ds_read_b128 v[9:12], v9
	s_waitcnt lgkmcnt(0)
	v_add_f64 v[5:6], v[5:6], v[9:10]
	v_add_f64 v[7:8], v[7:8], v[11:12]
.LBB103_73:
	s_or_b64 exec, exec, s[2:3]
.LBB103_74:
	s_or_b64 exec, exec, s[0:1]
	s_barrier
	ds_write_b128 v23, v[5:8]
	s_waitcnt lgkmcnt(0)
	s_barrier
	s_and_saveexec_b64 s[0:1], s[6:7]
	s_cbranch_execz .LBB103_78
; %bb.75:
	ds_read_b32 v9, v27
	s_waitcnt lgkmcnt(0)
	v_cmp_eq_u32_e32 vcc, v17, v9
	s_and_saveexec_b64 s[2:3], vcc
	s_cbranch_execz .LBB103_77
; %bb.76:
	v_add_u32_e32 v9, 0xffffff80, v23
	ds_read_b128 v[9:12], v9
	s_waitcnt lgkmcnt(0)
	v_add_f64 v[5:6], v[5:6], v[9:10]
	v_add_f64 v[7:8], v[7:8], v[11:12]
.LBB103_77:
	s_or_b64 exec, exec, s[2:3]
.LBB103_78:
	s_or_b64 exec, exec, s[0:1]
	s_barrier
	ds_write_b128 v23, v[5:8]
	s_waitcnt lgkmcnt(0)
	s_barrier
	s_and_saveexec_b64 s[0:1], s[8:9]
	s_cbranch_execz .LBB103_82
; %bb.79:
	ds_read_b32 v9, v28
	s_waitcnt lgkmcnt(0)
	v_cmp_eq_u32_e32 vcc, v17, v9
	s_and_saveexec_b64 s[2:3], vcc
	s_cbranch_execz .LBB103_81
; %bb.80:
	v_add_u32_e32 v9, 0xffffff00, v23
	ds_read_b128 v[9:12], v9
	s_waitcnt lgkmcnt(0)
	v_add_f64 v[5:6], v[5:6], v[9:10]
	v_add_f64 v[7:8], v[7:8], v[11:12]
.LBB103_81:
	s_or_b64 exec, exec, s[2:3]
.LBB103_82:
	s_or_b64 exec, exec, s[0:1]
	s_barrier
	ds_write_b128 v23, v[5:8]
	s_waitcnt lgkmcnt(0)
	s_barrier
	s_and_saveexec_b64 s[0:1], s[10:11]
	s_cbranch_execz .LBB103_86
; %bb.83:
	v_add_u32_e32 v9, 0xffffff80, v22
	ds_read_b32 v9, v9
	s_waitcnt lgkmcnt(0)
	v_cmp_eq_u32_e32 vcc, v17, v9
	s_and_saveexec_b64 s[2:3], vcc
	s_cbranch_execz .LBB103_85
; %bb.84:
	v_add_u32_e32 v9, 0xfffffe00, v23
	ds_read_b128 v[9:12], v9
	s_waitcnt lgkmcnt(0)
	v_add_f64 v[5:6], v[5:6], v[9:10]
	v_add_f64 v[7:8], v[7:8], v[11:12]
.LBB103_85:
	s_or_b64 exec, exec, s[2:3]
.LBB103_86:
	s_or_b64 exec, exec, s[0:1]
	s_barrier
	ds_write_b128 v23, v[5:8]
	s_waitcnt lgkmcnt(0)
	s_barrier
	s_and_saveexec_b64 s[0:1], s[12:13]
	s_cbranch_execz .LBB103_90
; %bb.87:
	v_add_u32_e32 v9, 0xffffff00, v22
	ds_read_b32 v9, v9
	s_waitcnt lgkmcnt(0)
	v_cmp_eq_u32_e32 vcc, v17, v9
	s_and_saveexec_b64 s[2:3], vcc
	s_cbranch_execz .LBB103_89
; %bb.88:
	v_add_u32_e32 v9, 0xfffffc00, v23
	ds_read_b128 v[9:12], v9
	s_waitcnt lgkmcnt(0)
	v_add_f64 v[5:6], v[5:6], v[9:10]
	v_add_f64 v[7:8], v[7:8], v[11:12]
.LBB103_89:
	s_or_b64 exec, exec, s[2:3]
.LBB103_90:
	;; [unrolled: 23-line block ×3, first 2 shown]
	s_or_b64 exec, exec, s[0:1]
	s_barrier
	ds_write_b128 v23, v[5:8]
	s_waitcnt lgkmcnt(0)
	s_barrier
	s_and_saveexec_b64 s[2:3], s[16:17]
	s_cbranch_execz .LBB103_100
; %bb.95:
	ds_read_b32 v9, v22 offset:4
	v_cmp_lt_i32_e64 s[0:1], -1, v17
	s_waitcnt lgkmcnt(0)
	v_cmp_ne_u32_e32 vcc, v17, v9
	s_and_b64 s[0:1], s[0:1], vcc
	s_and_b64 exec, exec, s[0:1]
	s_cbranch_execz .LBB103_100
; %bb.96:
	v_mov_b32_e32 v18, 0
	v_lshlrev_b64 v[9:10], 4, v[17:18]
	v_mov_b32_e32 v11, s23
	v_add_co_u32_e32 v13, vcc, s22, v9
	v_addc_co_u32_e32 v14, vcc, v11, v10, vcc
	global_load_dwordx2 v[11:12], v[13:14], off
	v_mul_f64 v[9:10], v[7:8], -v[3:4]
	s_mov_b64 s[0:1], 0
	v_fma_f64 v[15:16], v[1:2], v[5:6], v[9:10]
.LBB103_97:                             ; =>This Inner Loop Header: Depth=1
	s_waitcnt vmcnt(0)
	v_add_f64 v[9:10], v[11:12], v[15:16]
	global_atomic_cmpswap_x2 v[9:10], v[13:14], v[9:12], off glc
	s_waitcnt vmcnt(0)
	v_cmp_eq_u64_e32 vcc, v[9:10], v[11:12]
	v_mov_b32_e32 v12, v10
	s_or_b64 s[0:1], vcc, s[0:1]
	v_mov_b32_e32 v11, v9
	s_andn2_b64 exec, exec, s[0:1]
	s_cbranch_execnz .LBB103_97
; %bb.98:
	s_or_b64 exec, exec, s[0:1]
	global_load_dwordx2 v[11:12], v[13:14], off offset:8
	v_mul_f64 v[9:10], v[1:2], v[7:8]
	s_mov_b64 s[0:1], 0
	v_fma_f64 v[15:16], v[3:4], v[5:6], v[9:10]
.LBB103_99:                             ; =>This Inner Loop Header: Depth=1
	s_waitcnt vmcnt(0)
	v_add_f64 v[9:10], v[11:12], v[15:16]
	global_atomic_cmpswap_x2 v[9:10], v[13:14], v[9:12], off offset:8 glc
	s_waitcnt vmcnt(0)
	v_cmp_eq_u64_e32 vcc, v[9:10], v[11:12]
	v_mov_b32_e32 v12, v10
	s_or_b64 s[0:1], vcc, s[0:1]
	v_mov_b32_e32 v11, v9
	s_andn2_b64 exec, exec, s[0:1]
	s_cbranch_execnz .LBB103_99
.LBB103_100:
	s_or_b64 exec, exec, s[2:3]
	s_movk_i32 s0, 0xff
	v_cmp_eq_u32_e32 vcc, s0, v0
	v_cmp_lt_i32_e64 s[0:1], -1, v17
	s_and_b64 s[0:1], vcc, s[0:1]
	s_and_b64 exec, exec, s[0:1]
	s_cbranch_execz .LBB103_105
; %bb.101:
	v_mov_b32_e32 v18, 0
	v_lshlrev_b64 v[9:10], 4, v[17:18]
	v_mov_b32_e32 v0, s23
	v_add_co_u32_e32 v13, vcc, s22, v9
	v_addc_co_u32_e32 v14, vcc, v0, v10, vcc
	global_load_dwordx2 v[11:12], v[13:14], off
	v_mul_f64 v[9:10], v[7:8], -v[3:4]
	s_mov_b64 s[0:1], 0
	v_fma_f64 v[15:16], v[1:2], v[5:6], v[9:10]
.LBB103_102:                            ; =>This Inner Loop Header: Depth=1
	s_waitcnt vmcnt(0)
	v_add_f64 v[9:10], v[11:12], v[15:16]
	global_atomic_cmpswap_x2 v[9:10], v[13:14], v[9:12], off glc
	s_waitcnt vmcnt(0)
	v_cmp_eq_u64_e32 vcc, v[9:10], v[11:12]
	v_mov_b32_e32 v12, v10
	s_or_b64 s[0:1], vcc, s[0:1]
	v_mov_b32_e32 v11, v9
	s_andn2_b64 exec, exec, s[0:1]
	s_cbranch_execnz .LBB103_102
; %bb.103:
	s_or_b64 exec, exec, s[0:1]
	global_load_dwordx2 v[9:10], v[13:14], off offset:8
	v_mul_f64 v[0:1], v[1:2], v[7:8]
	s_mov_b64 s[0:1], 0
	v_fma_f64 v[0:1], v[3:4], v[5:6], v[0:1]
.LBB103_104:                            ; =>This Inner Loop Header: Depth=1
	s_waitcnt vmcnt(0)
	v_add_f64 v[7:8], v[9:10], v[0:1]
	global_atomic_cmpswap_x2 v[2:3], v[13:14], v[7:10], off offset:8 glc
	s_waitcnt vmcnt(0)
	v_cmp_eq_u64_e32 vcc, v[2:3], v[9:10]
	v_mov_b32_e32 v10, v3
	s_or_b64 s[0:1], vcc, s[0:1]
	v_mov_b32_e32 v9, v2
	s_andn2_b64 exec, exec, s[0:1]
	s_cbranch_execnz .LBB103_104
.LBB103_105:
	s_endpgm
	.section	.rodata,"a",@progbits
	.p2align	6, 0x0
	.amdhsa_kernel _ZN9rocsparseL19coomvn_atomic_loopsILj256ELj2Ei21rocsparse_complex_numIfES1_IdES3_S3_EEvlNS_24const_host_device_scalarIT5_EEPKT1_S9_PKT2_PKT3_PT4_21rocsparse_index_base_b
		.amdhsa_group_segment_fixed_size 5120
		.amdhsa_private_segment_fixed_size 0
		.amdhsa_kernarg_size 72
		.amdhsa_user_sgpr_count 6
		.amdhsa_user_sgpr_private_segment_buffer 1
		.amdhsa_user_sgpr_dispatch_ptr 0
		.amdhsa_user_sgpr_queue_ptr 0
		.amdhsa_user_sgpr_kernarg_segment_ptr 1
		.amdhsa_user_sgpr_dispatch_id 0
		.amdhsa_user_sgpr_flat_scratch_init 0
		.amdhsa_user_sgpr_private_segment_size 0
		.amdhsa_uses_dynamic_stack 0
		.amdhsa_system_sgpr_private_segment_wavefront_offset 0
		.amdhsa_system_sgpr_workgroup_id_x 1
		.amdhsa_system_sgpr_workgroup_id_y 0
		.amdhsa_system_sgpr_workgroup_id_z 0
		.amdhsa_system_sgpr_workgroup_info 0
		.amdhsa_system_vgpr_workitem_id 0
		.amdhsa_next_free_vgpr 29
		.amdhsa_next_free_sgpr 40
		.amdhsa_reserve_vcc 1
		.amdhsa_reserve_flat_scratch 0
		.amdhsa_float_round_mode_32 0
		.amdhsa_float_round_mode_16_64 0
		.amdhsa_float_denorm_mode_32 3
		.amdhsa_float_denorm_mode_16_64 3
		.amdhsa_dx10_clamp 1
		.amdhsa_ieee_mode 1
		.amdhsa_fp16_overflow 0
		.amdhsa_exception_fp_ieee_invalid_op 0
		.amdhsa_exception_fp_denorm_src 0
		.amdhsa_exception_fp_ieee_div_zero 0
		.amdhsa_exception_fp_ieee_overflow 0
		.amdhsa_exception_fp_ieee_underflow 0
		.amdhsa_exception_fp_ieee_inexact 0
		.amdhsa_exception_int_div_zero 0
	.end_amdhsa_kernel
	.section	.text._ZN9rocsparseL19coomvn_atomic_loopsILj256ELj2Ei21rocsparse_complex_numIfES1_IdES3_S3_EEvlNS_24const_host_device_scalarIT5_EEPKT1_S9_PKT2_PKT3_PT4_21rocsparse_index_base_b,"axG",@progbits,_ZN9rocsparseL19coomvn_atomic_loopsILj256ELj2Ei21rocsparse_complex_numIfES1_IdES3_S3_EEvlNS_24const_host_device_scalarIT5_EEPKT1_S9_PKT2_PKT3_PT4_21rocsparse_index_base_b,comdat
.Lfunc_end103:
	.size	_ZN9rocsparseL19coomvn_atomic_loopsILj256ELj2Ei21rocsparse_complex_numIfES1_IdES3_S3_EEvlNS_24const_host_device_scalarIT5_EEPKT1_S9_PKT2_PKT3_PT4_21rocsparse_index_base_b, .Lfunc_end103-_ZN9rocsparseL19coomvn_atomic_loopsILj256ELj2Ei21rocsparse_complex_numIfES1_IdES3_S3_EEvlNS_24const_host_device_scalarIT5_EEPKT1_S9_PKT2_PKT3_PT4_21rocsparse_index_base_b
                                        ; -- End function
	.set _ZN9rocsparseL19coomvn_atomic_loopsILj256ELj2Ei21rocsparse_complex_numIfES1_IdES3_S3_EEvlNS_24const_host_device_scalarIT5_EEPKT1_S9_PKT2_PKT3_PT4_21rocsparse_index_base_b.num_vgpr, 29
	.set _ZN9rocsparseL19coomvn_atomic_loopsILj256ELj2Ei21rocsparse_complex_numIfES1_IdES3_S3_EEvlNS_24const_host_device_scalarIT5_EEPKT1_S9_PKT2_PKT3_PT4_21rocsparse_index_base_b.num_agpr, 0
	.set _ZN9rocsparseL19coomvn_atomic_loopsILj256ELj2Ei21rocsparse_complex_numIfES1_IdES3_S3_EEvlNS_24const_host_device_scalarIT5_EEPKT1_S9_PKT2_PKT3_PT4_21rocsparse_index_base_b.numbered_sgpr, 40
	.set _ZN9rocsparseL19coomvn_atomic_loopsILj256ELj2Ei21rocsparse_complex_numIfES1_IdES3_S3_EEvlNS_24const_host_device_scalarIT5_EEPKT1_S9_PKT2_PKT3_PT4_21rocsparse_index_base_b.num_named_barrier, 0
	.set _ZN9rocsparseL19coomvn_atomic_loopsILj256ELj2Ei21rocsparse_complex_numIfES1_IdES3_S3_EEvlNS_24const_host_device_scalarIT5_EEPKT1_S9_PKT2_PKT3_PT4_21rocsparse_index_base_b.private_seg_size, 0
	.set _ZN9rocsparseL19coomvn_atomic_loopsILj256ELj2Ei21rocsparse_complex_numIfES1_IdES3_S3_EEvlNS_24const_host_device_scalarIT5_EEPKT1_S9_PKT2_PKT3_PT4_21rocsparse_index_base_b.uses_vcc, 1
	.set _ZN9rocsparseL19coomvn_atomic_loopsILj256ELj2Ei21rocsparse_complex_numIfES1_IdES3_S3_EEvlNS_24const_host_device_scalarIT5_EEPKT1_S9_PKT2_PKT3_PT4_21rocsparse_index_base_b.uses_flat_scratch, 0
	.set _ZN9rocsparseL19coomvn_atomic_loopsILj256ELj2Ei21rocsparse_complex_numIfES1_IdES3_S3_EEvlNS_24const_host_device_scalarIT5_EEPKT1_S9_PKT2_PKT3_PT4_21rocsparse_index_base_b.has_dyn_sized_stack, 0
	.set _ZN9rocsparseL19coomvn_atomic_loopsILj256ELj2Ei21rocsparse_complex_numIfES1_IdES3_S3_EEvlNS_24const_host_device_scalarIT5_EEPKT1_S9_PKT2_PKT3_PT4_21rocsparse_index_base_b.has_recursion, 0
	.set _ZN9rocsparseL19coomvn_atomic_loopsILj256ELj2Ei21rocsparse_complex_numIfES1_IdES3_S3_EEvlNS_24const_host_device_scalarIT5_EEPKT1_S9_PKT2_PKT3_PT4_21rocsparse_index_base_b.has_indirect_call, 0
	.section	.AMDGPU.csdata,"",@progbits
; Kernel info:
; codeLenInByte = 3420
; TotalNumSgprs: 44
; NumVgprs: 29
; ScratchSize: 0
; MemoryBound: 0
; FloatMode: 240
; IeeeMode: 1
; LDSByteSize: 5120 bytes/workgroup (compile time only)
; SGPRBlocks: 5
; VGPRBlocks: 7
; NumSGPRsForWavesPerEU: 44
; NumVGPRsForWavesPerEU: 29
; Occupancy: 8
; WaveLimiterHint : 1
; COMPUTE_PGM_RSRC2:SCRATCH_EN: 0
; COMPUTE_PGM_RSRC2:USER_SGPR: 6
; COMPUTE_PGM_RSRC2:TRAP_HANDLER: 0
; COMPUTE_PGM_RSRC2:TGID_X_EN: 1
; COMPUTE_PGM_RSRC2:TGID_Y_EN: 0
; COMPUTE_PGM_RSRC2:TGID_Z_EN: 0
; COMPUTE_PGM_RSRC2:TIDIG_COMP_CNT: 0
	.section	.text._ZN9rocsparseL22coomvn_segmented_loopsILj256El21rocsparse_complex_numIfES1_IdES3_S3_EEvlT0_NS_24const_host_device_scalarIT4_EEPKS4_S9_PKT1_PKT2_PT3_PS4_PS6_21rocsparse_index_base_b,"axG",@progbits,_ZN9rocsparseL22coomvn_segmented_loopsILj256El21rocsparse_complex_numIfES1_IdES3_S3_EEvlT0_NS_24const_host_device_scalarIT4_EEPKS4_S9_PKT1_PKT2_PT3_PS4_PS6_21rocsparse_index_base_b,comdat
	.globl	_ZN9rocsparseL22coomvn_segmented_loopsILj256El21rocsparse_complex_numIfES1_IdES3_S3_EEvlT0_NS_24const_host_device_scalarIT4_EEPKS4_S9_PKT1_PKT2_PT3_PS4_PS6_21rocsparse_index_base_b ; -- Begin function _ZN9rocsparseL22coomvn_segmented_loopsILj256El21rocsparse_complex_numIfES1_IdES3_S3_EEvlT0_NS_24const_host_device_scalarIT4_EEPKS4_S9_PKT1_PKT2_PT3_PS4_PS6_21rocsparse_index_base_b
	.p2align	8
	.type	_ZN9rocsparseL22coomvn_segmented_loopsILj256El21rocsparse_complex_numIfES1_IdES3_S3_EEvlT0_NS_24const_host_device_scalarIT4_EEPKS4_S9_PKT1_PKT2_PT3_PS4_PS6_21rocsparse_index_base_b,@function
_ZN9rocsparseL22coomvn_segmented_loopsILj256El21rocsparse_complex_numIfES1_IdES3_S3_EEvlT0_NS_24const_host_device_scalarIT4_EEPKS4_S9_PKT1_PKT2_PT3_PS4_PS6_21rocsparse_index_base_b: ; @_ZN9rocsparseL22coomvn_segmented_loopsILj256El21rocsparse_complex_numIfES1_IdES3_S3_EEvlT0_NS_24const_host_device_scalarIT4_EEPKS4_S9_PKT1_PKT2_PT3_PS4_PS6_21rocsparse_index_base_b
; %bb.0:
	s_load_dwordx2 s[34:35], s[4:5], 0x58
	s_load_dwordx2 s[0:1], s[4:5], 0x10
	s_add_u32 s2, s4, 16
	s_addc_u32 s3, s5, 0
	s_waitcnt lgkmcnt(0)
	s_bitcmp1_b32 s35, 0
	s_cselect_b32 s1, s3, s1
	s_cselect_b32 s0, s2, s0
	v_mov_b32_e32 v1, s0
	v_mov_b32_e32 v2, s1
	flat_load_dwordx4 v[1:4], v[1:2]
	s_waitcnt vmcnt(0) lgkmcnt(0)
	v_cmp_neq_f64_e32 vcc, 0, v[1:2]
	v_cmp_neq_f64_e64 s[0:1], 0, v[3:4]
	s_or_b64 s[0:1], vcc, s[0:1]
	s_and_saveexec_b64 s[2:3], s[0:1]
	s_cbranch_execz .LBB104_87
; %bb.1:
	s_load_dwordx4 s[28:31], s[4:5], 0x0
	s_load_dwordx8 s[36:43], s[4:5], 0x20
	v_mov_b32_e32 v5, 0
	v_mov_b32_e32 v6, 0
	v_mov_b32_e32 v9, -1
	s_waitcnt lgkmcnt(0)
	s_mul_i32 s1, s6, s31
	s_mul_hi_u32 s2, s6, s30
	s_mul_i32 s0, s6, s30
	s_add_i32 s1, s2, s1
	s_lshl_b64 s[0:1], s[0:1], 8
	v_or_b32_e32 v17, s0, v0
	v_mov_b32_e32 v18, s1
	v_cmp_gt_i64_e32 vcc, s[28:29], v[17:18]
	v_mov_b32_e32 v8, v6
	s_mov_b32 s7, 0
	v_mov_b32_e32 v10, -1
	v_mov_b32_e32 v7, v5
	s_and_saveexec_b64 s[0:1], vcc
	s_cbranch_execz .LBB104_3
; %bb.2:
	v_lshlrev_b64 v[5:6], 3, v[17:18]
	v_mov_b32_e32 v8, s39
	v_add_co_u32_e32 v7, vcc, s38, v5
	v_addc_co_u32_e32 v8, vcc, v8, v6, vcc
	global_load_dwordx2 v[7:8], v[7:8], off glc slc
	v_mov_b32_e32 v10, s41
	v_add_co_u32_e32 v9, vcc, s40, v5
	v_addc_co_u32_e32 v10, vcc, v10, v6, vcc
	v_mov_b32_e32 v13, s43
	s_ashr_i32 s35, s34, 31
	global_load_dwordx2 v[11:12], v[9:10], off glc slc
	s_lshl_b64 s[2:3], s[34:35], 4
	v_mov_b32_e32 v14, s3
	s_waitcnt vmcnt(1)
	v_lshlrev_b64 v[7:8], 4, v[7:8]
	v_add_co_u32_e32 v7, vcc, s42, v7
	v_addc_co_u32_e32 v8, vcc, v13, v8, vcc
	v_subrev_co_u32_e32 v7, vcc, s2, v7
	v_subb_co_u32_e32 v8, vcc, v8, v14, vcc
	global_load_dwordx4 v[7:10], v[7:8], off
	v_mov_b32_e32 v13, s37
	v_add_co_u32_e32 v5, vcc, s36, v5
	v_addc_co_u32_e32 v6, vcc, v13, v6, vcc
	global_load_dwordx2 v[13:14], v[5:6], off glc slc
	s_waitcnt vmcnt(2)
	v_cvt_f64_f32_e32 v[15:16], v12
	v_cvt_f64_f32_e32 v[5:6], v11
	s_waitcnt vmcnt(1)
	v_mul_f64 v[11:12], v[9:10], -v[15:16]
	v_mul_f64 v[9:10], v[9:10], v[5:6]
	v_fma_f64 v[5:6], v[5:6], v[7:8], v[11:12]
	v_fma_f64 v[7:8], v[15:16], v[7:8], v[9:10]
	s_waitcnt vmcnt(0)
	v_subrev_co_u32_e32 v9, vcc, s34, v13
	v_subbrev_co_u32_e32 v10, vcc, 0, v14, vcc
.LBB104_3:
	s_or_b64 exec, exec, s[0:1]
	v_lshlrev_b32_e32 v11, 3, v0
	v_or_b32_e32 v21, 0x1000, v11
	v_lshlrev_b32_e32 v22, 4, v0
	v_cmp_eq_u32_e64 s[0:1], 0, v0
	v_cmp_ne_u32_e64 s[2:3], 0, v0
	v_add_u32_e32 v23, -8, v21
	ds_write_b64 v11, v[9:10] offset:4096
	ds_write_b128 v22, v[5:8]
	s_waitcnt lgkmcnt(0)
	s_barrier
	s_and_saveexec_b64 s[8:9], s[2:3]
	s_cbranch_execz .LBB104_7
; %bb.4:
	ds_read_b64 v[11:12], v23
	s_waitcnt lgkmcnt(0)
	v_cmp_eq_u64_e32 vcc, v[9:10], v[11:12]
	s_and_saveexec_b64 s[10:11], vcc
	s_cbranch_execz .LBB104_6
; %bb.5:
	v_add_u32_e32 v11, -16, v22
	ds_read_b128 v[11:14], v11
	s_waitcnt lgkmcnt(0)
	v_add_f64 v[5:6], v[5:6], v[11:12]
	v_add_f64 v[7:8], v[7:8], v[13:14]
.LBB104_6:
	s_or_b64 exec, exec, s[10:11]
.LBB104_7:
	s_or_b64 exec, exec, s[8:9]
	v_cmp_lt_u32_e64 s[22:23], 1, v0
	v_add_u32_e32 v24, -16, v21
	s_barrier
	ds_write_b128 v22, v[5:8]
	s_waitcnt lgkmcnt(0)
	s_barrier
	s_and_saveexec_b64 s[8:9], s[22:23]
	s_cbranch_execz .LBB104_11
; %bb.8:
	ds_read_b64 v[11:12], v24
	s_waitcnt lgkmcnt(0)
	v_cmp_eq_u64_e32 vcc, v[9:10], v[11:12]
	s_and_saveexec_b64 s[10:11], vcc
	s_cbranch_execz .LBB104_10
; %bb.9:
	v_subrev_u32_e32 v11, 32, v22
	ds_read_b128 v[11:14], v11
	s_waitcnt lgkmcnt(0)
	v_add_f64 v[5:6], v[5:6], v[11:12]
	v_add_f64 v[7:8], v[7:8], v[13:14]
.LBB104_10:
	s_or_b64 exec, exec, s[10:11]
.LBB104_11:
	s_or_b64 exec, exec, s[8:9]
	v_cmp_lt_u32_e64 s[8:9], 3, v0
	v_subrev_u32_e32 v25, 32, v21
	s_barrier
	ds_write_b128 v22, v[5:8]
	s_waitcnt lgkmcnt(0)
	s_barrier
	s_and_saveexec_b64 s[10:11], s[8:9]
	s_cbranch_execz .LBB104_15
; %bb.12:
	ds_read_b64 v[11:12], v25
	s_waitcnt lgkmcnt(0)
	v_cmp_eq_u64_e32 vcc, v[9:10], v[11:12]
	s_and_saveexec_b64 s[12:13], vcc
	s_cbranch_execz .LBB104_14
; %bb.13:
	v_subrev_u32_e32 v11, 64, v22
	ds_read_b128 v[11:14], v11
	s_waitcnt lgkmcnt(0)
	v_add_f64 v[5:6], v[5:6], v[11:12]
	v_add_f64 v[7:8], v[7:8], v[13:14]
.LBB104_14:
	s_or_b64 exec, exec, s[12:13]
.LBB104_15:
	s_or_b64 exec, exec, s[10:11]
	v_cmp_lt_u32_e64 s[10:11], 7, v0
	v_subrev_u32_e32 v26, 64, v21
	s_barrier
	ds_write_b128 v22, v[5:8]
	s_waitcnt lgkmcnt(0)
	s_barrier
	s_and_saveexec_b64 s[12:13], s[10:11]
	s_cbranch_execz .LBB104_19
; %bb.16:
	ds_read_b64 v[11:12], v26
	s_waitcnt lgkmcnt(0)
	v_cmp_eq_u64_e32 vcc, v[9:10], v[11:12]
	s_and_saveexec_b64 s[14:15], vcc
	s_cbranch_execz .LBB104_18
; %bb.17:
	v_add_u32_e32 v11, 0xffffff80, v22
	ds_read_b128 v[11:14], v11
	s_waitcnt lgkmcnt(0)
	v_add_f64 v[5:6], v[5:6], v[11:12]
	v_add_f64 v[7:8], v[7:8], v[13:14]
.LBB104_18:
	s_or_b64 exec, exec, s[14:15]
.LBB104_19:
	s_or_b64 exec, exec, s[12:13]
	v_cmp_lt_u32_e64 s[12:13], 15, v0
	s_barrier
	ds_write_b128 v22, v[5:8]
	s_waitcnt lgkmcnt(0)
	s_barrier
	s_and_saveexec_b64 s[14:15], s[12:13]
	s_cbranch_execz .LBB104_23
; %bb.20:
	v_add_u32_e32 v11, 0xffffff80, v21
	ds_read_b64 v[11:12], v11
	s_waitcnt lgkmcnt(0)
	v_cmp_eq_u64_e32 vcc, v[9:10], v[11:12]
	s_and_saveexec_b64 s[16:17], vcc
	s_cbranch_execz .LBB104_22
; %bb.21:
	v_add_u32_e32 v11, 0xffffff00, v22
	ds_read_b128 v[11:14], v11
	s_waitcnt lgkmcnt(0)
	v_add_f64 v[5:6], v[5:6], v[11:12]
	v_add_f64 v[7:8], v[7:8], v[13:14]
.LBB104_22:
	s_or_b64 exec, exec, s[16:17]
.LBB104_23:
	s_or_b64 exec, exec, s[14:15]
	v_cmp_lt_u32_e64 s[14:15], 31, v0
	s_barrier
	ds_write_b128 v22, v[5:8]
	s_waitcnt lgkmcnt(0)
	s_barrier
	s_and_saveexec_b64 s[16:17], s[14:15]
	s_cbranch_execz .LBB104_27
; %bb.24:
	v_add_u32_e32 v11, 0xffffff00, v21
	ds_read_b64 v[11:12], v11
	s_waitcnt lgkmcnt(0)
	v_cmp_eq_u64_e32 vcc, v[9:10], v[11:12]
	s_and_saveexec_b64 s[18:19], vcc
	s_cbranch_execz .LBB104_26
; %bb.25:
	v_add_u32_e32 v11, 0xfffffe00, v22
	ds_read_b128 v[11:14], v11
	s_waitcnt lgkmcnt(0)
	v_add_f64 v[5:6], v[5:6], v[11:12]
	v_add_f64 v[7:8], v[7:8], v[13:14]
.LBB104_26:
	s_or_b64 exec, exec, s[18:19]
.LBB104_27:
	;; [unrolled: 24-line block ×3, first 2 shown]
	s_or_b64 exec, exec, s[18:19]
	s_load_dwordx2 s[44:45], s[4:5], 0x40
	s_movk_i32 s18, 0x7f
	v_cmp_lt_u32_e64 s[18:19], s18, v0
	s_waitcnt lgkmcnt(0)
	s_barrier
	ds_write_b128 v22, v[5:8]
	s_waitcnt lgkmcnt(0)
	s_barrier
	s_and_saveexec_b64 s[20:21], s[18:19]
	s_cbranch_execz .LBB104_35
; %bb.32:
	v_add_u32_e32 v11, 0xfffffc00, v21
	ds_read_b64 v[11:12], v11
	s_waitcnt lgkmcnt(0)
	v_cmp_eq_u64_e32 vcc, v[9:10], v[11:12]
	s_and_saveexec_b64 s[24:25], vcc
	s_cbranch_execz .LBB104_34
; %bb.33:
	v_add_u32_e32 v11, 0xfffff800, v22
	ds_read_b128 v[11:14], v11
	s_waitcnt lgkmcnt(0)
	v_add_f64 v[5:6], v[5:6], v[11:12]
	v_add_f64 v[7:8], v[7:8], v[13:14]
.LBB104_34:
	s_or_b64 exec, exec, s[24:25]
.LBB104_35:
	s_or_b64 exec, exec, s[20:21]
	s_movk_i32 s20, 0xff
	v_cmp_gt_u32_e64 s[20:21], s20, v0
	s_barrier
	ds_write_b128 v22, v[5:8]
	s_waitcnt lgkmcnt(0)
	s_barrier
	s_and_saveexec_b64 s[26:27], s[20:21]
	s_cbranch_execz .LBB104_38
; %bb.36:
	ds_read_b64 v[11:12], v21 offset:8
	v_cmp_lt_i64_e64 s[24:25], -1, v[9:10]
	s_waitcnt lgkmcnt(0)
	v_cmp_ne_u64_e32 vcc, v[9:10], v[11:12]
	s_and_b64 s[24:25], s[24:25], vcc
	s_and_b64 exec, exec, s[24:25]
	s_cbranch_execz .LBB104_38
; %bb.37:
	v_lshlrev_b64 v[11:12], 4, v[9:10]
	v_mov_b32_e32 v13, s45
	v_add_co_u32_e32 v15, vcc, s44, v11
	v_addc_co_u32_e32 v16, vcc, v13, v12, vcc
	global_load_dwordx4 v[11:14], v[15:16], off
	s_waitcnt vmcnt(0)
	v_fma_f64 v[11:12], v[1:2], v[5:6], v[11:12]
	v_fma_f64 v[13:14], v[3:4], v[5:6], v[13:14]
	v_fma_f64 v[11:12], -v[3:4], v[7:8], v[11:12]
	v_fma_f64 v[13:14], v[1:2], v[7:8], v[13:14]
	global_store_dwordx4 v[15:16], v[11:14], off
.LBB104_38:
	s_or_b64 exec, exec, s[26:27]
	s_load_dwordx4 s[24:27], s[4:5], 0x48
	v_cmp_lt_i64_e64 s[4:5], s[30:31], 2
	s_and_b64 vcc, exec, s[4:5]
	s_cbranch_vccnz .LBB104_85
; %bb.39:
	s_add_u32 s46, s30, -1
	s_addc_u32 s47, s31, -1
	s_ashr_i32 s35, s34, 31
	s_lshl_b64 s[4:5], s[34:35], 4
	s_sub_u32 s33, s42, s4
	s_subb_u32 s35, s43, s5
	s_mul_i32 s4, s31, s6
	s_mul_hi_u32 s5, s30, s6
	s_add_i32 s5, s5, s4
	s_mul_i32 s4, s30, s6
	s_lshl_b64 s[4:5], s[4:5], 11
	v_lshl_or_b32 v5, v0, 3, s4
	s_movk_i32 s4, 0x800
	v_mov_b32_e32 v6, s5
	v_add_co_u32_e32 v5, vcc, s4, v5
	v_addc_co_u32_e32 v6, vcc, 0, v6, vcc
	v_mov_b32_e32 v7, s39
	v_add_co_u32_e32 v11, vcc, s38, v5
	v_addc_co_u32_e32 v12, vcc, v7, v6, vcc
	;; [unrolled: 3-line block ×4, first 2 shown]
	s_movk_i32 s4, 0x100
	v_add_co_u32_e32 v17, vcc, s4, v17
	v_subrev_u32_e32 v27, 64, v22
	v_add_u32_e32 v28, 0xffffff80, v22
	v_add_u32_e32 v29, 0xffffff80, v21
	;; [unrolled: 1-line block ×8, first 2 shown]
	v_addc_co_u32_e32 v18, vcc, 0, v18, vcc
	v_add_u32_e32 v36, 0xfffff800, v22
	s_mov_b64 s[30:31], 0
	v_mov_b32_e32 v37, 0
	s_branch .LBB104_41
.LBB104_40:                             ;   in Loop: Header=BB104_41 Depth=1
	s_or_b64 exec, exec, s[36:37]
	v_add_co_u32_e32 v11, vcc, 0x800, v11
	v_addc_co_u32_e32 v12, vcc, 0, v12, vcc
	v_add_co_u32_e32 v13, vcc, 0x800, v13
	v_addc_co_u32_e32 v14, vcc, 0, v14, vcc
	s_add_u32 s30, s30, 1
	v_add_co_u32_e32 v15, vcc, 0x800, v15
	s_addc_u32 s31, s31, 0
	v_mov_b32_e32 v19, s30
	v_addc_co_u32_e32 v16, vcc, 0, v16, vcc
	v_mov_b32_e32 v20, s31
	v_add_co_u32_e32 v17, vcc, 0x100, v17
	v_cmp_le_u64_e64 s[4:5], s[46:47], v[19:20]
	v_addc_co_u32_e32 v18, vcc, 0, v18, vcc
	s_and_b64 vcc, exec, s[4:5]
	s_cbranch_vccnz .LBB104_85
.LBB104_41:                             ; =>This Inner Loop Header: Depth=1
	v_cmp_gt_i64_e32 vcc, s[28:29], v[17:18]
	v_mov_b32_e32 v9, -1
	v_mov_b32_e32 v5, 0
	v_mov_b32_e32 v7, 0
	v_mov_b32_e32 v10, -1
	v_mov_b32_e32 v6, 0
	v_mov_b32_e32 v8, 0
	s_and_saveexec_b64 s[4:5], vcc
	s_cbranch_execz .LBB104_43
; %bb.42:                               ;   in Loop: Header=BB104_41 Depth=1
	global_load_dwordx2 v[5:6], v[11:12], off glc slc
	global_load_dwordx2 v[19:20], v[13:14], off glc slc
	v_mov_b32_e32 v7, s35
	s_waitcnt vmcnt(1)
	v_lshlrev_b64 v[5:6], 4, v[5:6]
	s_waitcnt vmcnt(0)
	v_cvt_f64_f32_e32 v[40:41], v20
	v_add_co_u32_e32 v5, vcc, s33, v5
	v_addc_co_u32_e32 v6, vcc, v7, v6, vcc
	global_load_dwordx4 v[7:10], v[5:6], off
	global_load_dwordx2 v[38:39], v[15:16], off glc slc
	v_cvt_f64_f32_e32 v[5:6], v19
	s_waitcnt vmcnt(1)
	v_mul_f64 v[19:20], v[9:10], -v[40:41]
	v_mul_f64 v[9:10], v[9:10], v[5:6]
	v_fma_f64 v[5:6], v[5:6], v[7:8], v[19:20]
	v_fma_f64 v[7:8], v[40:41], v[7:8], v[9:10]
	s_waitcnt vmcnt(0)
	v_subrev_co_u32_e32 v9, vcc, s34, v38
	v_subbrev_co_u32_e32 v10, vcc, 0, v39, vcc
.LBB104_43:                             ;   in Loop: Header=BB104_41 Depth=1
	s_or_b64 exec, exec, s[4:5]
	s_and_saveexec_b64 s[4:5], s[0:1]
	s_cbranch_execz .LBB104_50
; %bb.44:                               ;   in Loop: Header=BB104_41 Depth=1
	ds_read_b64 v[19:20], v37 offset:6136
	s_waitcnt lgkmcnt(0)
	v_cmp_ne_u64_e32 vcc, v[9:10], v[19:20]
	s_and_saveexec_b64 s[36:37], vcc
	s_xor_b64 s[36:37], exec, s[36:37]
	s_cbranch_execz .LBB104_47
; %bb.45:                               ;   in Loop: Header=BB104_41 Depth=1
	v_cmp_gt_i64_e32 vcc, 0, v[19:20]
	s_cbranch_vccnz .LBB104_47
; %bb.46:                               ;   in Loop: Header=BB104_41 Depth=1
	v_lshlrev_b64 v[19:20], 4, v[19:20]
	v_mov_b32_e32 v38, s45
	v_add_co_u32_e32 v19, vcc, s44, v19
	v_addc_co_u32_e32 v20, vcc, v38, v20, vcc
	global_load_dwordx4 v[38:41], v[19:20], off
	ds_read_b128 v[42:45], v37 offset:4080
	s_waitcnt vmcnt(0) lgkmcnt(0)
	v_fma_f64 v[38:39], v[1:2], v[42:43], v[38:39]
	v_fma_f64 v[40:41], v[3:4], v[42:43], v[40:41]
	v_fma_f64 v[38:39], -v[3:4], v[44:45], v[38:39]
	v_fma_f64 v[40:41], v[1:2], v[44:45], v[40:41]
	global_store_dwordx4 v[19:20], v[38:41], off
.LBB104_47:                             ;   in Loop: Header=BB104_41 Depth=1
	s_andn2_saveexec_b64 s[36:37], s[36:37]
	s_cbranch_execz .LBB104_49
; %bb.48:                               ;   in Loop: Header=BB104_41 Depth=1
	ds_read_b128 v[38:41], v37 offset:4080
	s_waitcnt lgkmcnt(0)
	v_add_f64 v[5:6], v[5:6], v[38:39]
	v_add_f64 v[7:8], v[7:8], v[40:41]
.LBB104_49:                             ;   in Loop: Header=BB104_41 Depth=1
	s_or_b64 exec, exec, s[36:37]
.LBB104_50:                             ;   in Loop: Header=BB104_41 Depth=1
	s_or_b64 exec, exec, s[4:5]
	s_waitcnt vmcnt(0) lgkmcnt(0)
	s_barrier
	ds_write_b64 v21, v[9:10]
	ds_write_b128 v22, v[5:8]
	s_waitcnt lgkmcnt(0)
	s_barrier
	s_and_saveexec_b64 s[4:5], s[2:3]
	s_cbranch_execz .LBB104_54
; %bb.51:                               ;   in Loop: Header=BB104_41 Depth=1
	ds_read_b64 v[19:20], v23
	s_waitcnt lgkmcnt(0)
	v_cmp_eq_u64_e32 vcc, v[9:10], v[19:20]
	s_and_saveexec_b64 s[36:37], vcc
	s_cbranch_execz .LBB104_53
; %bb.52:                               ;   in Loop: Header=BB104_41 Depth=1
	v_add_u32_e32 v19, -16, v22
	ds_read_b128 v[38:41], v19
	s_waitcnt lgkmcnt(0)
	v_add_f64 v[5:6], v[5:6], v[38:39]
	v_add_f64 v[7:8], v[7:8], v[40:41]
.LBB104_53:                             ;   in Loop: Header=BB104_41 Depth=1
	s_or_b64 exec, exec, s[36:37]
.LBB104_54:                             ;   in Loop: Header=BB104_41 Depth=1
	s_or_b64 exec, exec, s[4:5]
	s_barrier
	ds_write_b128 v22, v[5:8]
	s_waitcnt lgkmcnt(0)
	s_barrier
	s_and_saveexec_b64 s[4:5], s[22:23]
	s_cbranch_execz .LBB104_58
; %bb.55:                               ;   in Loop: Header=BB104_41 Depth=1
	ds_read_b64 v[19:20], v24
	s_waitcnt lgkmcnt(0)
	v_cmp_eq_u64_e32 vcc, v[9:10], v[19:20]
	s_and_saveexec_b64 s[36:37], vcc
	s_cbranch_execz .LBB104_57
; %bb.56:                               ;   in Loop: Header=BB104_41 Depth=1
	v_subrev_u32_e32 v19, 32, v22
	ds_read_b128 v[38:41], v19
	s_waitcnt lgkmcnt(0)
	v_add_f64 v[5:6], v[5:6], v[38:39]
	v_add_f64 v[7:8], v[7:8], v[40:41]
.LBB104_57:                             ;   in Loop: Header=BB104_41 Depth=1
	s_or_b64 exec, exec, s[36:37]
.LBB104_58:                             ;   in Loop: Header=BB104_41 Depth=1
	s_or_b64 exec, exec, s[4:5]
	s_barrier
	ds_write_b128 v22, v[5:8]
	s_waitcnt lgkmcnt(0)
	s_barrier
	s_and_saveexec_b64 s[4:5], s[8:9]
	s_cbranch_execz .LBB104_62
; %bb.59:                               ;   in Loop: Header=BB104_41 Depth=1
	ds_read_b64 v[19:20], v25
	s_waitcnt lgkmcnt(0)
	v_cmp_eq_u64_e32 vcc, v[9:10], v[19:20]
	s_and_saveexec_b64 s[36:37], vcc
	s_cbranch_execz .LBB104_61
; %bb.60:                               ;   in Loop: Header=BB104_41 Depth=1
	ds_read_b128 v[38:41], v27
	s_waitcnt lgkmcnt(0)
	v_add_f64 v[5:6], v[5:6], v[38:39]
	v_add_f64 v[7:8], v[7:8], v[40:41]
.LBB104_61:                             ;   in Loop: Header=BB104_41 Depth=1
	s_or_b64 exec, exec, s[36:37]
.LBB104_62:                             ;   in Loop: Header=BB104_41 Depth=1
	s_or_b64 exec, exec, s[4:5]
	s_barrier
	ds_write_b128 v22, v[5:8]
	s_waitcnt lgkmcnt(0)
	s_barrier
	s_and_saveexec_b64 s[4:5], s[10:11]
	s_cbranch_execz .LBB104_66
; %bb.63:                               ;   in Loop: Header=BB104_41 Depth=1
	ds_read_b64 v[19:20], v26
	s_waitcnt lgkmcnt(0)
	v_cmp_eq_u64_e32 vcc, v[9:10], v[19:20]
	s_and_saveexec_b64 s[36:37], vcc
	s_cbranch_execz .LBB104_65
; %bb.64:                               ;   in Loop: Header=BB104_41 Depth=1
	ds_read_b128 v[38:41], v28
	s_waitcnt lgkmcnt(0)
	v_add_f64 v[5:6], v[5:6], v[38:39]
	v_add_f64 v[7:8], v[7:8], v[40:41]
.LBB104_65:                             ;   in Loop: Header=BB104_41 Depth=1
	s_or_b64 exec, exec, s[36:37]
.LBB104_66:                             ;   in Loop: Header=BB104_41 Depth=1
	;; [unrolled: 21-line block ×6, first 2 shown]
	s_or_b64 exec, exec, s[4:5]
	s_barrier
	ds_write_b128 v22, v[5:8]
	s_waitcnt lgkmcnt(0)
	s_barrier
	s_and_saveexec_b64 s[36:37], s[20:21]
	s_cbranch_execz .LBB104_40
; %bb.83:                               ;   in Loop: Header=BB104_41 Depth=1
	ds_read_b64 v[19:20], v21 offset:8
	v_cmp_lt_i64_e64 s[4:5], -1, v[9:10]
	s_waitcnt lgkmcnt(0)
	v_cmp_ne_u64_e32 vcc, v[9:10], v[19:20]
	s_and_b64 s[4:5], s[4:5], vcc
	s_and_b64 exec, exec, s[4:5]
	s_cbranch_execz .LBB104_40
; %bb.84:                               ;   in Loop: Header=BB104_41 Depth=1
	v_lshlrev_b64 v[19:20], 4, v[9:10]
	v_mov_b32_e32 v38, s45
	v_add_co_u32_e32 v19, vcc, s44, v19
	v_addc_co_u32_e32 v20, vcc, v38, v20, vcc
	global_load_dwordx4 v[38:41], v[19:20], off
	s_waitcnt vmcnt(0)
	v_fma_f64 v[38:39], v[1:2], v[5:6], v[38:39]
	v_fma_f64 v[40:41], v[3:4], v[5:6], v[40:41]
	v_fma_f64 v[38:39], -v[3:4], v[7:8], v[38:39]
	v_fma_f64 v[40:41], v[1:2], v[7:8], v[40:41]
	global_store_dwordx4 v[19:20], v[38:41], off
	s_branch .LBB104_40
.LBB104_85:
	s_movk_i32 s0, 0xff
	v_cmp_eq_u32_e32 vcc, s0, v0
	s_and_b64 exec, exec, vcc
	s_cbranch_execz .LBB104_87
; %bb.86:
	v_mul_f64 v[11:12], v[7:8], -v[3:4]
	v_mul_f64 v[7:8], v[1:2], v[7:8]
	s_lshl_b64 s[0:1], s[6:7], 3
	s_waitcnt lgkmcnt(0)
	s_add_u32 s0, s24, s0
	s_addc_u32 s1, s25, s1
	v_fma_f64 v[0:1], v[1:2], v[5:6], v[11:12]
	v_fma_f64 v[2:3], v[3:4], v[5:6], v[7:8]
	v_mov_b32_e32 v4, 0
	global_store_dwordx2 v4, v[9:10], s[0:1] glc slc
	s_lshl_b64 s[0:1], s[6:7], 4
	s_add_u32 s0, s26, s0
	s_addc_u32 s1, s27, s1
	global_store_dwordx4 v4, v[0:3], s[0:1] glc slc
.LBB104_87:
	s_endpgm
	.section	.rodata,"a",@progbits
	.p2align	6, 0x0
	.amdhsa_kernel _ZN9rocsparseL22coomvn_segmented_loopsILj256El21rocsparse_complex_numIfES1_IdES3_S3_EEvlT0_NS_24const_host_device_scalarIT4_EEPKS4_S9_PKT1_PKT2_PT3_PS4_PS6_21rocsparse_index_base_b
		.amdhsa_group_segment_fixed_size 6144
		.amdhsa_private_segment_fixed_size 0
		.amdhsa_kernarg_size 96
		.amdhsa_user_sgpr_count 6
		.amdhsa_user_sgpr_private_segment_buffer 1
		.amdhsa_user_sgpr_dispatch_ptr 0
		.amdhsa_user_sgpr_queue_ptr 0
		.amdhsa_user_sgpr_kernarg_segment_ptr 1
		.amdhsa_user_sgpr_dispatch_id 0
		.amdhsa_user_sgpr_flat_scratch_init 0
		.amdhsa_user_sgpr_private_segment_size 0
		.amdhsa_uses_dynamic_stack 0
		.amdhsa_system_sgpr_private_segment_wavefront_offset 0
		.amdhsa_system_sgpr_workgroup_id_x 1
		.amdhsa_system_sgpr_workgroup_id_y 0
		.amdhsa_system_sgpr_workgroup_id_z 0
		.amdhsa_system_sgpr_workgroup_info 0
		.amdhsa_system_vgpr_workitem_id 0
		.amdhsa_next_free_vgpr 46
		.amdhsa_next_free_sgpr 48
		.amdhsa_reserve_vcc 1
		.amdhsa_reserve_flat_scratch 0
		.amdhsa_float_round_mode_32 0
		.amdhsa_float_round_mode_16_64 0
		.amdhsa_float_denorm_mode_32 3
		.amdhsa_float_denorm_mode_16_64 3
		.amdhsa_dx10_clamp 1
		.amdhsa_ieee_mode 1
		.amdhsa_fp16_overflow 0
		.amdhsa_exception_fp_ieee_invalid_op 0
		.amdhsa_exception_fp_denorm_src 0
		.amdhsa_exception_fp_ieee_div_zero 0
		.amdhsa_exception_fp_ieee_overflow 0
		.amdhsa_exception_fp_ieee_underflow 0
		.amdhsa_exception_fp_ieee_inexact 0
		.amdhsa_exception_int_div_zero 0
	.end_amdhsa_kernel
	.section	.text._ZN9rocsparseL22coomvn_segmented_loopsILj256El21rocsparse_complex_numIfES1_IdES3_S3_EEvlT0_NS_24const_host_device_scalarIT4_EEPKS4_S9_PKT1_PKT2_PT3_PS4_PS6_21rocsparse_index_base_b,"axG",@progbits,_ZN9rocsparseL22coomvn_segmented_loopsILj256El21rocsparse_complex_numIfES1_IdES3_S3_EEvlT0_NS_24const_host_device_scalarIT4_EEPKS4_S9_PKT1_PKT2_PT3_PS4_PS6_21rocsparse_index_base_b,comdat
.Lfunc_end104:
	.size	_ZN9rocsparseL22coomvn_segmented_loopsILj256El21rocsparse_complex_numIfES1_IdES3_S3_EEvlT0_NS_24const_host_device_scalarIT4_EEPKS4_S9_PKT1_PKT2_PT3_PS4_PS6_21rocsparse_index_base_b, .Lfunc_end104-_ZN9rocsparseL22coomvn_segmented_loopsILj256El21rocsparse_complex_numIfES1_IdES3_S3_EEvlT0_NS_24const_host_device_scalarIT4_EEPKS4_S9_PKT1_PKT2_PT3_PS4_PS6_21rocsparse_index_base_b
                                        ; -- End function
	.set _ZN9rocsparseL22coomvn_segmented_loopsILj256El21rocsparse_complex_numIfES1_IdES3_S3_EEvlT0_NS_24const_host_device_scalarIT4_EEPKS4_S9_PKT1_PKT2_PT3_PS4_PS6_21rocsparse_index_base_b.num_vgpr, 46
	.set _ZN9rocsparseL22coomvn_segmented_loopsILj256El21rocsparse_complex_numIfES1_IdES3_S3_EEvlT0_NS_24const_host_device_scalarIT4_EEPKS4_S9_PKT1_PKT2_PT3_PS4_PS6_21rocsparse_index_base_b.num_agpr, 0
	.set _ZN9rocsparseL22coomvn_segmented_loopsILj256El21rocsparse_complex_numIfES1_IdES3_S3_EEvlT0_NS_24const_host_device_scalarIT4_EEPKS4_S9_PKT1_PKT2_PT3_PS4_PS6_21rocsparse_index_base_b.numbered_sgpr, 48
	.set _ZN9rocsparseL22coomvn_segmented_loopsILj256El21rocsparse_complex_numIfES1_IdES3_S3_EEvlT0_NS_24const_host_device_scalarIT4_EEPKS4_S9_PKT1_PKT2_PT3_PS4_PS6_21rocsparse_index_base_b.num_named_barrier, 0
	.set _ZN9rocsparseL22coomvn_segmented_loopsILj256El21rocsparse_complex_numIfES1_IdES3_S3_EEvlT0_NS_24const_host_device_scalarIT4_EEPKS4_S9_PKT1_PKT2_PT3_PS4_PS6_21rocsparse_index_base_b.private_seg_size, 0
	.set _ZN9rocsparseL22coomvn_segmented_loopsILj256El21rocsparse_complex_numIfES1_IdES3_S3_EEvlT0_NS_24const_host_device_scalarIT4_EEPKS4_S9_PKT1_PKT2_PT3_PS4_PS6_21rocsparse_index_base_b.uses_vcc, 1
	.set _ZN9rocsparseL22coomvn_segmented_loopsILj256El21rocsparse_complex_numIfES1_IdES3_S3_EEvlT0_NS_24const_host_device_scalarIT4_EEPKS4_S9_PKT1_PKT2_PT3_PS4_PS6_21rocsparse_index_base_b.uses_flat_scratch, 0
	.set _ZN9rocsparseL22coomvn_segmented_loopsILj256El21rocsparse_complex_numIfES1_IdES3_S3_EEvlT0_NS_24const_host_device_scalarIT4_EEPKS4_S9_PKT1_PKT2_PT3_PS4_PS6_21rocsparse_index_base_b.has_dyn_sized_stack, 0
	.set _ZN9rocsparseL22coomvn_segmented_loopsILj256El21rocsparse_complex_numIfES1_IdES3_S3_EEvlT0_NS_24const_host_device_scalarIT4_EEPKS4_S9_PKT1_PKT2_PT3_PS4_PS6_21rocsparse_index_base_b.has_recursion, 0
	.set _ZN9rocsparseL22coomvn_segmented_loopsILj256El21rocsparse_complex_numIfES1_IdES3_S3_EEvlT0_NS_24const_host_device_scalarIT4_EEPKS4_S9_PKT1_PKT2_PT3_PS4_PS6_21rocsparse_index_base_b.has_indirect_call, 0
	.section	.AMDGPU.csdata,"",@progbits
; Kernel info:
; codeLenInByte = 3020
; TotalNumSgprs: 52
; NumVgprs: 46
; ScratchSize: 0
; MemoryBound: 1
; FloatMode: 240
; IeeeMode: 1
; LDSByteSize: 6144 bytes/workgroup (compile time only)
; SGPRBlocks: 6
; VGPRBlocks: 11
; NumSGPRsForWavesPerEU: 52
; NumVGPRsForWavesPerEU: 46
; Occupancy: 5
; WaveLimiterHint : 1
; COMPUTE_PGM_RSRC2:SCRATCH_EN: 0
; COMPUTE_PGM_RSRC2:USER_SGPR: 6
; COMPUTE_PGM_RSRC2:TRAP_HANDLER: 0
; COMPUTE_PGM_RSRC2:TGID_X_EN: 1
; COMPUTE_PGM_RSRC2:TGID_Y_EN: 0
; COMPUTE_PGM_RSRC2:TGID_Z_EN: 0
; COMPUTE_PGM_RSRC2:TIDIG_COMP_CNT: 0
	.section	.text._ZN9rocsparseL13coomvt_kernelILj1024El21rocsparse_complex_numIfES1_IdES3_S3_EEv20rocsparse_operation_lNS_24const_host_device_scalarIT4_EEPKT0_SA_PKT1_PKT2_PT3_21rocsparse_index_base_b,"axG",@progbits,_ZN9rocsparseL13coomvt_kernelILj1024El21rocsparse_complex_numIfES1_IdES3_S3_EEv20rocsparse_operation_lNS_24const_host_device_scalarIT4_EEPKT0_SA_PKT1_PKT2_PT3_21rocsparse_index_base_b,comdat
	.globl	_ZN9rocsparseL13coomvt_kernelILj1024El21rocsparse_complex_numIfES1_IdES3_S3_EEv20rocsparse_operation_lNS_24const_host_device_scalarIT4_EEPKT0_SA_PKT1_PKT2_PT3_21rocsparse_index_base_b ; -- Begin function _ZN9rocsparseL13coomvt_kernelILj1024El21rocsparse_complex_numIfES1_IdES3_S3_EEv20rocsparse_operation_lNS_24const_host_device_scalarIT4_EEPKT0_SA_PKT1_PKT2_PT3_21rocsparse_index_base_b
	.p2align	8
	.type	_ZN9rocsparseL13coomvt_kernelILj1024El21rocsparse_complex_numIfES1_IdES3_S3_EEv20rocsparse_operation_lNS_24const_host_device_scalarIT4_EEPKT0_SA_PKT1_PKT2_PT3_21rocsparse_index_base_b,@function
_ZN9rocsparseL13coomvt_kernelILj1024El21rocsparse_complex_numIfES1_IdES3_S3_EEv20rocsparse_operation_lNS_24const_host_device_scalarIT4_EEPKT0_SA_PKT1_PKT2_PT3_21rocsparse_index_base_b: ; @_ZN9rocsparseL13coomvt_kernelILj1024El21rocsparse_complex_numIfES1_IdES3_S3_EEv20rocsparse_operation_lNS_24const_host_device_scalarIT4_EEPKT0_SA_PKT1_PKT2_PT3_21rocsparse_index_base_b
; %bb.0:
	s_load_dwordx2 s[2:3], s[4:5], 0x48
	s_load_dwordx4 s[8:11], s[4:5], 0x8
	s_add_u32 s0, s4, 16
	s_addc_u32 s1, s5, 0
	s_waitcnt lgkmcnt(0)
	s_bitcmp1_b32 s3, 0
	s_cselect_b32 s1, s1, s11
	s_cselect_b32 s0, s0, s10
	v_mov_b32_e32 v1, s0
	v_mov_b32_e32 v2, s1
	flat_load_dwordx4 v[1:4], v[1:2]
	s_waitcnt vmcnt(0) lgkmcnt(0)
	v_cmp_neq_f64_e32 vcc, 0, v[1:2]
	v_cmp_neq_f64_e64 s[0:1], 0, v[3:4]
	s_or_b64 s[0:1], vcc, s[0:1]
	s_and_saveexec_b64 s[10:11], s[0:1]
	s_cbranch_execz .LBB105_6
; %bb.1:
	s_load_dword s0, s[4:5], 0x5c
	v_mov_b32_e32 v6, 0
	s_waitcnt lgkmcnt(0)
	s_and_b32 s0, s0, 0xffff
	s_mul_i32 s6, s6, s0
	v_add_u32_e32 v5, s6, v0
	v_cmp_gt_i64_e32 vcc, s[8:9], v[5:6]
	s_and_b64 exec, exec, vcc
	s_cbranch_execz .LBB105_6
; %bb.2:
	s_load_dwordx8 s[8:15], s[4:5], 0x20
	v_lshlrev_b64 v[5:6], 3, v[5:6]
	s_load_dwordx2 s[0:1], s[4:5], 0x40
	s_waitcnt lgkmcnt(0)
	v_mov_b32_e32 v0, s9
	v_add_co_u32_e32 v7, vcc, s8, v5
	v_addc_co_u32_e32 v8, vcc, v0, v6, vcc
	global_load_dwordx2 v[7:8], v[7:8], off
	v_mov_b32_e32 v0, s11
	v_add_co_u32_e32 v9, vcc, s10, v5
	v_addc_co_u32_e32 v10, vcc, v0, v6, vcc
	global_load_dwordx2 v[9:10], v[9:10], off
	;; [unrolled: 4-line block ×3, first 2 shown]
	v_mov_b32_e32 v0, s15
	s_waitcnt vmcnt(2)
	v_subrev_co_u32_e32 v5, vcc, s2, v7
	v_subbrev_co_u32_e32 v6, vcc, 0, v8, vcc
	v_lshlrev_b64 v[5:6], 4, v[5:6]
	v_add_co_u32_e32 v5, vcc, s14, v5
	v_addc_co_u32_e32 v6, vcc, v0, v6, vcc
	global_load_dwordx4 v[5:8], v[5:6], off
	s_waitcnt vmcnt(2)
	v_subrev_co_u32_e32 v9, vcc, s2, v9
	v_subbrev_co_u32_e32 v10, vcc, 0, v10, vcc
	v_lshlrev_b64 v[9:10], 4, v[9:10]
	v_mov_b32_e32 v0, s1
	v_add_co_u32_e32 v13, vcc, s0, v9
	v_addc_co_u32_e32 v14, vcc, v0, v10, vcc
	global_load_dwordx2 v[11:12], v[13:14], off
	s_load_dword s0, s[4:5], 0x0
	s_waitcnt vmcnt(2)
	v_cvt_f64_f32_e32 v[18:19], v15
	s_waitcnt lgkmcnt(0)
	s_cmpk_eq_i32 s0, 0x71
	s_cselect_b64 s[0:1], -1, 0
	v_cndmask_b32_e64 v0, v16, -v16, s[0:1]
	v_cvt_f64_f32_e32 v[9:10], v0
	s_mov_b64 s[0:1], 0
	v_mul_f64 v[16:17], v[1:2], v[9:10]
	v_mul_f64 v[9:10], -v[3:4], v[9:10]
	v_fma_f64 v[15:16], v[3:4], v[18:19], v[16:17]
	v_fma_f64 v[0:1], v[1:2], v[18:19], v[9:10]
	s_waitcnt vmcnt(1)
	v_mul_f64 v[2:3], v[7:8], -v[15:16]
	v_fma_f64 v[2:3], v[0:1], v[5:6], v[2:3]
.LBB105_3:                              ; =>This Inner Loop Header: Depth=1
	s_waitcnt vmcnt(0)
	v_add_f64 v[9:10], v[11:12], v[2:3]
	global_atomic_cmpswap_x2 v[9:10], v[13:14], v[9:12], off glc
	s_waitcnt vmcnt(0)
	v_cmp_eq_u64_e32 vcc, v[9:10], v[11:12]
	v_mov_b32_e32 v12, v10
	s_or_b64 s[0:1], vcc, s[0:1]
	v_mov_b32_e32 v11, v9
	s_andn2_b64 exec, exec, s[0:1]
	s_cbranch_execnz .LBB105_3
; %bb.4:
	s_or_b64 exec, exec, s[0:1]
	global_load_dwordx2 v[2:3], v[13:14], off offset:8
	v_mul_f64 v[0:1], v[7:8], v[0:1]
	s_mov_b64 s[0:1], 0
	v_fma_f64 v[4:5], v[15:16], v[5:6], v[0:1]
.LBB105_5:                              ; =>This Inner Loop Header: Depth=1
	s_waitcnt vmcnt(0)
	v_add_f64 v[0:1], v[2:3], v[4:5]
	global_atomic_cmpswap_x2 v[0:1], v[13:14], v[0:3], off offset:8 glc
	s_waitcnt vmcnt(0)
	v_cmp_eq_u64_e32 vcc, v[0:1], v[2:3]
	v_mov_b32_e32 v3, v1
	s_or_b64 s[0:1], vcc, s[0:1]
	v_mov_b32_e32 v2, v0
	s_andn2_b64 exec, exec, s[0:1]
	s_cbranch_execnz .LBB105_5
.LBB105_6:
	s_endpgm
	.section	.rodata,"a",@progbits
	.p2align	6, 0x0
	.amdhsa_kernel _ZN9rocsparseL13coomvt_kernelILj1024El21rocsparse_complex_numIfES1_IdES3_S3_EEv20rocsparse_operation_lNS_24const_host_device_scalarIT4_EEPKT0_SA_PKT1_PKT2_PT3_21rocsparse_index_base_b
		.amdhsa_group_segment_fixed_size 0
		.amdhsa_private_segment_fixed_size 0
		.amdhsa_kernarg_size 336
		.amdhsa_user_sgpr_count 6
		.amdhsa_user_sgpr_private_segment_buffer 1
		.amdhsa_user_sgpr_dispatch_ptr 0
		.amdhsa_user_sgpr_queue_ptr 0
		.amdhsa_user_sgpr_kernarg_segment_ptr 1
		.amdhsa_user_sgpr_dispatch_id 0
		.amdhsa_user_sgpr_flat_scratch_init 0
		.amdhsa_user_sgpr_private_segment_size 0
		.amdhsa_uses_dynamic_stack 0
		.amdhsa_system_sgpr_private_segment_wavefront_offset 0
		.amdhsa_system_sgpr_workgroup_id_x 1
		.amdhsa_system_sgpr_workgroup_id_y 0
		.amdhsa_system_sgpr_workgroup_id_z 0
		.amdhsa_system_sgpr_workgroup_info 0
		.amdhsa_system_vgpr_workitem_id 0
		.amdhsa_next_free_vgpr 20
		.amdhsa_next_free_sgpr 16
		.amdhsa_reserve_vcc 1
		.amdhsa_reserve_flat_scratch 0
		.amdhsa_float_round_mode_32 0
		.amdhsa_float_round_mode_16_64 0
		.amdhsa_float_denorm_mode_32 3
		.amdhsa_float_denorm_mode_16_64 3
		.amdhsa_dx10_clamp 1
		.amdhsa_ieee_mode 1
		.amdhsa_fp16_overflow 0
		.amdhsa_exception_fp_ieee_invalid_op 0
		.amdhsa_exception_fp_denorm_src 0
		.amdhsa_exception_fp_ieee_div_zero 0
		.amdhsa_exception_fp_ieee_overflow 0
		.amdhsa_exception_fp_ieee_underflow 0
		.amdhsa_exception_fp_ieee_inexact 0
		.amdhsa_exception_int_div_zero 0
	.end_amdhsa_kernel
	.section	.text._ZN9rocsparseL13coomvt_kernelILj1024El21rocsparse_complex_numIfES1_IdES3_S3_EEv20rocsparse_operation_lNS_24const_host_device_scalarIT4_EEPKT0_SA_PKT1_PKT2_PT3_21rocsparse_index_base_b,"axG",@progbits,_ZN9rocsparseL13coomvt_kernelILj1024El21rocsparse_complex_numIfES1_IdES3_S3_EEv20rocsparse_operation_lNS_24const_host_device_scalarIT4_EEPKT0_SA_PKT1_PKT2_PT3_21rocsparse_index_base_b,comdat
.Lfunc_end105:
	.size	_ZN9rocsparseL13coomvt_kernelILj1024El21rocsparse_complex_numIfES1_IdES3_S3_EEv20rocsparse_operation_lNS_24const_host_device_scalarIT4_EEPKT0_SA_PKT1_PKT2_PT3_21rocsparse_index_base_b, .Lfunc_end105-_ZN9rocsparseL13coomvt_kernelILj1024El21rocsparse_complex_numIfES1_IdES3_S3_EEv20rocsparse_operation_lNS_24const_host_device_scalarIT4_EEPKT0_SA_PKT1_PKT2_PT3_21rocsparse_index_base_b
                                        ; -- End function
	.set _ZN9rocsparseL13coomvt_kernelILj1024El21rocsparse_complex_numIfES1_IdES3_S3_EEv20rocsparse_operation_lNS_24const_host_device_scalarIT4_EEPKT0_SA_PKT1_PKT2_PT3_21rocsparse_index_base_b.num_vgpr, 20
	.set _ZN9rocsparseL13coomvt_kernelILj1024El21rocsparse_complex_numIfES1_IdES3_S3_EEv20rocsparse_operation_lNS_24const_host_device_scalarIT4_EEPKT0_SA_PKT1_PKT2_PT3_21rocsparse_index_base_b.num_agpr, 0
	.set _ZN9rocsparseL13coomvt_kernelILj1024El21rocsparse_complex_numIfES1_IdES3_S3_EEv20rocsparse_operation_lNS_24const_host_device_scalarIT4_EEPKT0_SA_PKT1_PKT2_PT3_21rocsparse_index_base_b.numbered_sgpr, 16
	.set _ZN9rocsparseL13coomvt_kernelILj1024El21rocsparse_complex_numIfES1_IdES3_S3_EEv20rocsparse_operation_lNS_24const_host_device_scalarIT4_EEPKT0_SA_PKT1_PKT2_PT3_21rocsparse_index_base_b.num_named_barrier, 0
	.set _ZN9rocsparseL13coomvt_kernelILj1024El21rocsparse_complex_numIfES1_IdES3_S3_EEv20rocsparse_operation_lNS_24const_host_device_scalarIT4_EEPKT0_SA_PKT1_PKT2_PT3_21rocsparse_index_base_b.private_seg_size, 0
	.set _ZN9rocsparseL13coomvt_kernelILj1024El21rocsparse_complex_numIfES1_IdES3_S3_EEv20rocsparse_operation_lNS_24const_host_device_scalarIT4_EEPKT0_SA_PKT1_PKT2_PT3_21rocsparse_index_base_b.uses_vcc, 1
	.set _ZN9rocsparseL13coomvt_kernelILj1024El21rocsparse_complex_numIfES1_IdES3_S3_EEv20rocsparse_operation_lNS_24const_host_device_scalarIT4_EEPKT0_SA_PKT1_PKT2_PT3_21rocsparse_index_base_b.uses_flat_scratch, 0
	.set _ZN9rocsparseL13coomvt_kernelILj1024El21rocsparse_complex_numIfES1_IdES3_S3_EEv20rocsparse_operation_lNS_24const_host_device_scalarIT4_EEPKT0_SA_PKT1_PKT2_PT3_21rocsparse_index_base_b.has_dyn_sized_stack, 0
	.set _ZN9rocsparseL13coomvt_kernelILj1024El21rocsparse_complex_numIfES1_IdES3_S3_EEv20rocsparse_operation_lNS_24const_host_device_scalarIT4_EEPKT0_SA_PKT1_PKT2_PT3_21rocsparse_index_base_b.has_recursion, 0
	.set _ZN9rocsparseL13coomvt_kernelILj1024El21rocsparse_complex_numIfES1_IdES3_S3_EEv20rocsparse_operation_lNS_24const_host_device_scalarIT4_EEPKT0_SA_PKT1_PKT2_PT3_21rocsparse_index_base_b.has_indirect_call, 0
	.section	.AMDGPU.csdata,"",@progbits
; Kernel info:
; codeLenInByte = 524
; TotalNumSgprs: 20
; NumVgprs: 20
; ScratchSize: 0
; MemoryBound: 0
; FloatMode: 240
; IeeeMode: 1
; LDSByteSize: 0 bytes/workgroup (compile time only)
; SGPRBlocks: 2
; VGPRBlocks: 4
; NumSGPRsForWavesPerEU: 20
; NumVGPRsForWavesPerEU: 20
; Occupancy: 10
; WaveLimiterHint : 1
; COMPUTE_PGM_RSRC2:SCRATCH_EN: 0
; COMPUTE_PGM_RSRC2:USER_SGPR: 6
; COMPUTE_PGM_RSRC2:TRAP_HANDLER: 0
; COMPUTE_PGM_RSRC2:TGID_X_EN: 1
; COMPUTE_PGM_RSRC2:TGID_Y_EN: 0
; COMPUTE_PGM_RSRC2:TGID_Z_EN: 0
; COMPUTE_PGM_RSRC2:TIDIG_COMP_CNT: 0
	.section	.text._ZN9rocsparseL19coomvn_atomic_loopsILj256ELj1El21rocsparse_complex_numIfES1_IdES3_S3_EEvlNS_24const_host_device_scalarIT5_EEPKT1_S9_PKT2_PKT3_PT4_21rocsparse_index_base_b,"axG",@progbits,_ZN9rocsparseL19coomvn_atomic_loopsILj256ELj1El21rocsparse_complex_numIfES1_IdES3_S3_EEvlNS_24const_host_device_scalarIT5_EEPKT1_S9_PKT2_PKT3_PT4_21rocsparse_index_base_b,comdat
	.globl	_ZN9rocsparseL19coomvn_atomic_loopsILj256ELj1El21rocsparse_complex_numIfES1_IdES3_S3_EEvlNS_24const_host_device_scalarIT5_EEPKT1_S9_PKT2_PKT3_PT4_21rocsparse_index_base_b ; -- Begin function _ZN9rocsparseL19coomvn_atomic_loopsILj256ELj1El21rocsparse_complex_numIfES1_IdES3_S3_EEvlNS_24const_host_device_scalarIT5_EEPKT1_S9_PKT2_PKT3_PT4_21rocsparse_index_base_b
	.p2align	8
	.type	_ZN9rocsparseL19coomvn_atomic_loopsILj256ELj1El21rocsparse_complex_numIfES1_IdES3_S3_EEvlNS_24const_host_device_scalarIT5_EEPKT1_S9_PKT2_PKT3_PT4_21rocsparse_index_base_b,@function
_ZN9rocsparseL19coomvn_atomic_loopsILj256ELj1El21rocsparse_complex_numIfES1_IdES3_S3_EEvlNS_24const_host_device_scalarIT5_EEPKT1_S9_PKT2_PKT3_PT4_21rocsparse_index_base_b: ; @_ZN9rocsparseL19coomvn_atomic_loopsILj256ELj1El21rocsparse_complex_numIfES1_IdES3_S3_EEvlNS_24const_host_device_scalarIT5_EEPKT1_S9_PKT2_PKT3_PT4_21rocsparse_index_base_b
; %bb.0:
	s_load_dwordx2 s[2:3], s[4:5], 0x40
	s_load_dwordx4 s[8:11], s[4:5], 0x0
	s_or_b32 s0, s4, 8
	s_waitcnt lgkmcnt(0)
	s_bitcmp1_b32 s3, 0
	s_cselect_b32 s1, s5, s11
	s_cselect_b32 s0, s0, s10
	v_mov_b32_e32 v1, s0
	v_mov_b32_e32 v2, s1
	flat_load_dwordx4 v[1:4], v[1:2]
	s_waitcnt vmcnt(0) lgkmcnt(0)
	v_cmp_neq_f64_e32 vcc, 0, v[1:2]
	v_cmp_neq_f64_e64 s[0:1], 0, v[3:4]
	s_or_b64 s[0:1], vcc, s[0:1]
	s_and_saveexec_b64 s[10:11], s[0:1]
	s_cbranch_execz .LBB106_46
; %bb.1:
	v_mov_b32_e32 v5, 0
	v_lshl_or_b32 v9, s6, 8, v0
	v_mov_b32_e32 v10, 0
	v_mov_b32_e32 v6, 0
	v_cmp_gt_i64_e32 vcc, s[8:9], v[9:10]
	v_mov_b32_e32 v13, -1
	v_mov_b32_e32 v8, v6
	v_mov_b32_e32 v14, -1
	v_mov_b32_e32 v7, v5
	s_and_saveexec_b64 s[0:1], vcc
	s_cbranch_execz .LBB106_3
; %bb.2:
	s_load_dwordx8 s[8:15], s[4:5], 0x18
	v_lshlrev_b64 v[5:6], 3, v[9:10]
	s_waitcnt lgkmcnt(0)
	v_mov_b32_e32 v8, s11
	v_add_co_u32_e32 v7, vcc, s10, v5
	v_addc_co_u32_e32 v8, vcc, v8, v6, vcc
	global_load_dwordx2 v[7:8], v[7:8], off glc slc
	v_mov_b32_e32 v10, s13
	v_add_co_u32_e32 v9, vcc, s12, v5
	v_addc_co_u32_e32 v10, vcc, v10, v6, vcc
	global_load_dwordx2 v[11:12], v[9:10], off glc slc
	v_mov_b32_e32 v13, s15
	s_waitcnt vmcnt(1)
	v_subrev_co_u32_e32 v7, vcc, s2, v7
	v_subbrev_co_u32_e32 v8, vcc, 0, v8, vcc
	v_lshlrev_b64 v[7:8], 4, v[7:8]
	v_add_co_u32_e32 v7, vcc, s14, v7
	v_addc_co_u32_e32 v8, vcc, v13, v8, vcc
	global_load_dwordx4 v[7:10], v[7:8], off
	v_mov_b32_e32 v13, s9
	v_add_co_u32_e32 v5, vcc, s8, v5
	v_addc_co_u32_e32 v6, vcc, v13, v6, vcc
	global_load_dwordx2 v[13:14], v[5:6], off glc slc
	s_waitcnt vmcnt(2)
	v_cvt_f64_f32_e32 v[15:16], v12
	v_cvt_f64_f32_e32 v[5:6], v11
	s_waitcnt vmcnt(1)
	v_mul_f64 v[11:12], v[9:10], -v[15:16]
	v_mul_f64 v[9:10], v[9:10], v[5:6]
	s_waitcnt vmcnt(0)
	v_subrev_co_u32_e32 v13, vcc, s2, v13
	v_fma_f64 v[5:6], v[5:6], v[7:8], v[11:12]
	v_fma_f64 v[7:8], v[15:16], v[7:8], v[9:10]
	v_subbrev_co_u32_e32 v14, vcc, 0, v14, vcc
.LBB106_3:
	s_or_b64 exec, exec, s[0:1]
	v_lshlrev_b32_e32 v10, 3, v0
	v_or_b32_e32 v9, 0x1000, v10
	ds_write_b64 v10, v[13:14] offset:4096
	v_lshlrev_b32_e32 v10, 4, v0
	v_cmp_ne_u32_e32 vcc, 0, v0
	ds_write_b128 v10, v[5:8]
	s_waitcnt lgkmcnt(0)
	s_barrier
	s_and_saveexec_b64 s[0:1], vcc
	s_cbranch_execz .LBB106_7
; %bb.4:
	v_add_u32_e32 v11, -8, v9
	ds_read_b64 v[11:12], v11
	s_waitcnt lgkmcnt(0)
	v_cmp_eq_u64_e32 vcc, v[13:14], v[11:12]
	s_and_saveexec_b64 s[2:3], vcc
	s_cbranch_execz .LBB106_6
; %bb.5:
	v_add_u32_e32 v11, -16, v10
	ds_read_b128 v[15:18], v11
	s_waitcnt lgkmcnt(0)
	v_add_f64 v[5:6], v[5:6], v[15:16]
	v_add_f64 v[7:8], v[7:8], v[17:18]
.LBB106_6:
	s_or_b64 exec, exec, s[2:3]
.LBB106_7:
	s_or_b64 exec, exec, s[0:1]
	v_cmp_lt_u32_e32 vcc, 1, v0
	s_barrier
	ds_write_b128 v10, v[5:8]
	s_waitcnt lgkmcnt(0)
	s_barrier
	s_and_saveexec_b64 s[0:1], vcc
	s_cbranch_execz .LBB106_11
; %bb.8:
	v_add_u32_e32 v11, -16, v9
	ds_read_b64 v[11:12], v11
	s_waitcnt lgkmcnt(0)
	v_cmp_eq_u64_e32 vcc, v[13:14], v[11:12]
	s_and_saveexec_b64 s[2:3], vcc
	s_cbranch_execz .LBB106_10
; %bb.9:
	v_subrev_u32_e32 v11, 32, v10
	ds_read_b128 v[15:18], v11
	s_waitcnt lgkmcnt(0)
	v_add_f64 v[5:6], v[5:6], v[15:16]
	v_add_f64 v[7:8], v[7:8], v[17:18]
.LBB106_10:
	s_or_b64 exec, exec, s[2:3]
.LBB106_11:
	s_or_b64 exec, exec, s[0:1]
	v_cmp_lt_u32_e32 vcc, 3, v0
	s_barrier
	ds_write_b128 v10, v[5:8]
	s_waitcnt lgkmcnt(0)
	s_barrier
	s_and_saveexec_b64 s[0:1], vcc
	s_cbranch_execz .LBB106_15
; %bb.12:
	v_subrev_u32_e32 v11, 32, v9
	ds_read_b64 v[11:12], v11
	s_waitcnt lgkmcnt(0)
	v_cmp_eq_u64_e32 vcc, v[13:14], v[11:12]
	s_and_saveexec_b64 s[2:3], vcc
	s_cbranch_execz .LBB106_14
; %bb.13:
	v_subrev_u32_e32 v11, 64, v10
	ds_read_b128 v[15:18], v11
	s_waitcnt lgkmcnt(0)
	v_add_f64 v[5:6], v[5:6], v[15:16]
	v_add_f64 v[7:8], v[7:8], v[17:18]
.LBB106_14:
	s_or_b64 exec, exec, s[2:3]
.LBB106_15:
	s_or_b64 exec, exec, s[0:1]
	v_cmp_lt_u32_e32 vcc, 7, v0
	s_barrier
	ds_write_b128 v10, v[5:8]
	s_waitcnt lgkmcnt(0)
	s_barrier
	s_and_saveexec_b64 s[0:1], vcc
	s_cbranch_execz .LBB106_19
; %bb.16:
	v_subrev_u32_e32 v11, 64, v9
	ds_read_b64 v[11:12], v11
	s_waitcnt lgkmcnt(0)
	v_cmp_eq_u64_e32 vcc, v[13:14], v[11:12]
	s_and_saveexec_b64 s[2:3], vcc
	s_cbranch_execz .LBB106_18
; %bb.17:
	v_add_u32_e32 v11, 0xffffff80, v10
	ds_read_b128 v[15:18], v11
	s_waitcnt lgkmcnt(0)
	v_add_f64 v[5:6], v[5:6], v[15:16]
	v_add_f64 v[7:8], v[7:8], v[17:18]
.LBB106_18:
	s_or_b64 exec, exec, s[2:3]
.LBB106_19:
	s_or_b64 exec, exec, s[0:1]
	v_cmp_lt_u32_e32 vcc, 15, v0
	s_barrier
	ds_write_b128 v10, v[5:8]
	s_waitcnt lgkmcnt(0)
	s_barrier
	s_and_saveexec_b64 s[0:1], vcc
	s_cbranch_execz .LBB106_23
; %bb.20:
	v_add_u32_e32 v11, 0xffffff80, v9
	ds_read_b64 v[11:12], v11
	s_waitcnt lgkmcnt(0)
	v_cmp_eq_u64_e32 vcc, v[13:14], v[11:12]
	s_and_saveexec_b64 s[2:3], vcc
	s_cbranch_execz .LBB106_22
; %bb.21:
	v_add_u32_e32 v11, 0xffffff00, v10
	ds_read_b128 v[15:18], v11
	s_waitcnt lgkmcnt(0)
	v_add_f64 v[5:6], v[5:6], v[15:16]
	v_add_f64 v[7:8], v[7:8], v[17:18]
.LBB106_22:
	s_or_b64 exec, exec, s[2:3]
.LBB106_23:
	s_or_b64 exec, exec, s[0:1]
	v_cmp_lt_u32_e32 vcc, 31, v0
	s_barrier
	ds_write_b128 v10, v[5:8]
	s_waitcnt lgkmcnt(0)
	s_barrier
	s_and_saveexec_b64 s[0:1], vcc
	s_cbranch_execz .LBB106_27
; %bb.24:
	v_add_u32_e32 v11, 0xffffff00, v9
	ds_read_b64 v[11:12], v11
	s_waitcnt lgkmcnt(0)
	v_cmp_eq_u64_e32 vcc, v[13:14], v[11:12]
	s_and_saveexec_b64 s[2:3], vcc
	s_cbranch_execz .LBB106_26
; %bb.25:
	v_add_u32_e32 v11, 0xfffffe00, v10
	ds_read_b128 v[15:18], v11
	s_waitcnt lgkmcnt(0)
	v_add_f64 v[5:6], v[5:6], v[15:16]
	v_add_f64 v[7:8], v[7:8], v[17:18]
.LBB106_26:
	s_or_b64 exec, exec, s[2:3]
.LBB106_27:
	;; [unrolled: 24-line block ×3, first 2 shown]
	s_or_b64 exec, exec, s[0:1]
	s_load_dwordx2 s[2:3], s[4:5], 0x38
	s_movk_i32 s0, 0x7f
	v_cmp_lt_u32_e32 vcc, s0, v0
	s_waitcnt lgkmcnt(0)
	s_barrier
	ds_write_b128 v10, v[5:8]
	s_waitcnt lgkmcnt(0)
	s_barrier
	s_and_saveexec_b64 s[0:1], vcc
	s_cbranch_execz .LBB106_35
; %bb.32:
	v_add_u32_e32 v11, 0xfffffc00, v9
	ds_read_b64 v[11:12], v11
	s_waitcnt lgkmcnt(0)
	v_cmp_eq_u64_e32 vcc, v[13:14], v[11:12]
	s_and_saveexec_b64 s[4:5], vcc
	s_cbranch_execz .LBB106_34
; %bb.33:
	v_add_u32_e32 v11, 0xfffff800, v10
	ds_read_b128 v[15:18], v11
	s_waitcnt lgkmcnt(0)
	v_add_f64 v[5:6], v[5:6], v[15:16]
	v_add_f64 v[7:8], v[7:8], v[17:18]
.LBB106_34:
	s_or_b64 exec, exec, s[4:5]
.LBB106_35:
	s_or_b64 exec, exec, s[0:1]
	s_movk_i32 s6, 0xff
	v_cmp_gt_u32_e32 vcc, s6, v0
	s_barrier
	ds_write_b128 v10, v[5:8]
	s_waitcnt lgkmcnt(0)
	s_barrier
	s_and_saveexec_b64 s[4:5], vcc
	s_cbranch_execz .LBB106_41
; %bb.36:
	ds_read_b64 v[9:10], v9 offset:8
	v_cmp_lt_i64_e64 s[0:1], -1, v[13:14]
	s_waitcnt lgkmcnt(0)
	v_cmp_ne_u64_e32 vcc, v[13:14], v[9:10]
	s_and_b64 s[0:1], s[0:1], vcc
	s_and_b64 exec, exec, s[0:1]
	s_cbranch_execz .LBB106_41
; %bb.37:
	v_lshlrev_b64 v[9:10], 4, v[13:14]
	v_mov_b32_e32 v11, s3
	v_add_co_u32_e32 v15, vcc, s2, v9
	v_addc_co_u32_e32 v16, vcc, v11, v10, vcc
	global_load_dwordx2 v[11:12], v[15:16], off
	v_mul_f64 v[9:10], v[7:8], -v[3:4]
	s_mov_b64 s[0:1], 0
	v_fma_f64 v[17:18], v[1:2], v[5:6], v[9:10]
.LBB106_38:                             ; =>This Inner Loop Header: Depth=1
	s_waitcnt vmcnt(0)
	v_add_f64 v[9:10], v[11:12], v[17:18]
	global_atomic_cmpswap_x2 v[9:10], v[15:16], v[9:12], off glc
	s_waitcnt vmcnt(0)
	v_cmp_eq_u64_e32 vcc, v[9:10], v[11:12]
	v_mov_b32_e32 v12, v10
	s_or_b64 s[0:1], vcc, s[0:1]
	v_mov_b32_e32 v11, v9
	s_andn2_b64 exec, exec, s[0:1]
	s_cbranch_execnz .LBB106_38
; %bb.39:
	s_or_b64 exec, exec, s[0:1]
	global_load_dwordx2 v[11:12], v[15:16], off offset:8
	v_mul_f64 v[9:10], v[1:2], v[7:8]
	s_mov_b64 s[0:1], 0
	v_fma_f64 v[17:18], v[3:4], v[5:6], v[9:10]
.LBB106_40:                             ; =>This Inner Loop Header: Depth=1
	s_waitcnt vmcnt(0)
	v_add_f64 v[9:10], v[11:12], v[17:18]
	global_atomic_cmpswap_x2 v[9:10], v[15:16], v[9:12], off offset:8 glc
	s_waitcnt vmcnt(0)
	v_cmp_eq_u64_e32 vcc, v[9:10], v[11:12]
	v_mov_b32_e32 v12, v10
	s_or_b64 s[0:1], vcc, s[0:1]
	v_mov_b32_e32 v11, v9
	s_andn2_b64 exec, exec, s[0:1]
	s_cbranch_execnz .LBB106_40
.LBB106_41:
	s_or_b64 exec, exec, s[4:5]
	v_cmp_lt_i64_e32 vcc, -1, v[13:14]
	v_cmp_eq_u32_e64 s[0:1], s6, v0
	s_and_b64 s[0:1], s[0:1], vcc
	s_and_b64 exec, exec, s[0:1]
	s_cbranch_execz .LBB106_46
; %bb.42:
	v_lshlrev_b64 v[9:10], 4, v[13:14]
	v_mov_b32_e32 v0, s3
	v_add_co_u32_e32 v13, vcc, s2, v9
	v_addc_co_u32_e32 v14, vcc, v0, v10, vcc
	global_load_dwordx2 v[11:12], v[13:14], off
	v_mul_f64 v[9:10], v[7:8], -v[3:4]
	s_mov_b64 s[0:1], 0
	v_fma_f64 v[15:16], v[1:2], v[5:6], v[9:10]
.LBB106_43:                             ; =>This Inner Loop Header: Depth=1
	s_waitcnt vmcnt(0)
	v_add_f64 v[9:10], v[11:12], v[15:16]
	global_atomic_cmpswap_x2 v[9:10], v[13:14], v[9:12], off glc
	s_waitcnt vmcnt(0)
	v_cmp_eq_u64_e32 vcc, v[9:10], v[11:12]
	v_mov_b32_e32 v12, v10
	s_or_b64 s[0:1], vcc, s[0:1]
	v_mov_b32_e32 v11, v9
	s_andn2_b64 exec, exec, s[0:1]
	s_cbranch_execnz .LBB106_43
; %bb.44:
	s_or_b64 exec, exec, s[0:1]
	global_load_dwordx2 v[9:10], v[13:14], off offset:8
	v_mul_f64 v[0:1], v[1:2], v[7:8]
	s_mov_b64 s[0:1], 0
	v_fma_f64 v[0:1], v[3:4], v[5:6], v[0:1]
.LBB106_45:                             ; =>This Inner Loop Header: Depth=1
	s_waitcnt vmcnt(0)
	v_add_f64 v[7:8], v[9:10], v[0:1]
	global_atomic_cmpswap_x2 v[2:3], v[13:14], v[7:10], off offset:8 glc
	s_waitcnt vmcnt(0)
	v_cmp_eq_u64_e32 vcc, v[2:3], v[9:10]
	v_mov_b32_e32 v10, v3
	s_or_b64 s[0:1], vcc, s[0:1]
	v_mov_b32_e32 v9, v2
	s_andn2_b64 exec, exec, s[0:1]
	s_cbranch_execnz .LBB106_45
.LBB106_46:
	s_endpgm
	.section	.rodata,"a",@progbits
	.p2align	6, 0x0
	.amdhsa_kernel _ZN9rocsparseL19coomvn_atomic_loopsILj256ELj1El21rocsparse_complex_numIfES1_IdES3_S3_EEvlNS_24const_host_device_scalarIT5_EEPKT1_S9_PKT2_PKT3_PT4_21rocsparse_index_base_b
		.amdhsa_group_segment_fixed_size 6144
		.amdhsa_private_segment_fixed_size 0
		.amdhsa_kernarg_size 72
		.amdhsa_user_sgpr_count 6
		.amdhsa_user_sgpr_private_segment_buffer 1
		.amdhsa_user_sgpr_dispatch_ptr 0
		.amdhsa_user_sgpr_queue_ptr 0
		.amdhsa_user_sgpr_kernarg_segment_ptr 1
		.amdhsa_user_sgpr_dispatch_id 0
		.amdhsa_user_sgpr_flat_scratch_init 0
		.amdhsa_user_sgpr_private_segment_size 0
		.amdhsa_uses_dynamic_stack 0
		.amdhsa_system_sgpr_private_segment_wavefront_offset 0
		.amdhsa_system_sgpr_workgroup_id_x 1
		.amdhsa_system_sgpr_workgroup_id_y 0
		.amdhsa_system_sgpr_workgroup_id_z 0
		.amdhsa_system_sgpr_workgroup_info 0
		.amdhsa_system_vgpr_workitem_id 0
		.amdhsa_next_free_vgpr 19
		.amdhsa_next_free_sgpr 16
		.amdhsa_reserve_vcc 1
		.amdhsa_reserve_flat_scratch 0
		.amdhsa_float_round_mode_32 0
		.amdhsa_float_round_mode_16_64 0
		.amdhsa_float_denorm_mode_32 3
		.amdhsa_float_denorm_mode_16_64 3
		.amdhsa_dx10_clamp 1
		.amdhsa_ieee_mode 1
		.amdhsa_fp16_overflow 0
		.amdhsa_exception_fp_ieee_invalid_op 0
		.amdhsa_exception_fp_denorm_src 0
		.amdhsa_exception_fp_ieee_div_zero 0
		.amdhsa_exception_fp_ieee_overflow 0
		.amdhsa_exception_fp_ieee_underflow 0
		.amdhsa_exception_fp_ieee_inexact 0
		.amdhsa_exception_int_div_zero 0
	.end_amdhsa_kernel
	.section	.text._ZN9rocsparseL19coomvn_atomic_loopsILj256ELj1El21rocsparse_complex_numIfES1_IdES3_S3_EEvlNS_24const_host_device_scalarIT5_EEPKT1_S9_PKT2_PKT3_PT4_21rocsparse_index_base_b,"axG",@progbits,_ZN9rocsparseL19coomvn_atomic_loopsILj256ELj1El21rocsparse_complex_numIfES1_IdES3_S3_EEvlNS_24const_host_device_scalarIT5_EEPKT1_S9_PKT2_PKT3_PT4_21rocsparse_index_base_b,comdat
.Lfunc_end106:
	.size	_ZN9rocsparseL19coomvn_atomic_loopsILj256ELj1El21rocsparse_complex_numIfES1_IdES3_S3_EEvlNS_24const_host_device_scalarIT5_EEPKT1_S9_PKT2_PKT3_PT4_21rocsparse_index_base_b, .Lfunc_end106-_ZN9rocsparseL19coomvn_atomic_loopsILj256ELj1El21rocsparse_complex_numIfES1_IdES3_S3_EEvlNS_24const_host_device_scalarIT5_EEPKT1_S9_PKT2_PKT3_PT4_21rocsparse_index_base_b
                                        ; -- End function
	.set _ZN9rocsparseL19coomvn_atomic_loopsILj256ELj1El21rocsparse_complex_numIfES1_IdES3_S3_EEvlNS_24const_host_device_scalarIT5_EEPKT1_S9_PKT2_PKT3_PT4_21rocsparse_index_base_b.num_vgpr, 19
	.set _ZN9rocsparseL19coomvn_atomic_loopsILj256ELj1El21rocsparse_complex_numIfES1_IdES3_S3_EEvlNS_24const_host_device_scalarIT5_EEPKT1_S9_PKT2_PKT3_PT4_21rocsparse_index_base_b.num_agpr, 0
	.set _ZN9rocsparseL19coomvn_atomic_loopsILj256ELj1El21rocsparse_complex_numIfES1_IdES3_S3_EEvlNS_24const_host_device_scalarIT5_EEPKT1_S9_PKT2_PKT3_PT4_21rocsparse_index_base_b.numbered_sgpr, 16
	.set _ZN9rocsparseL19coomvn_atomic_loopsILj256ELj1El21rocsparse_complex_numIfES1_IdES3_S3_EEvlNS_24const_host_device_scalarIT5_EEPKT1_S9_PKT2_PKT3_PT4_21rocsparse_index_base_b.num_named_barrier, 0
	.set _ZN9rocsparseL19coomvn_atomic_loopsILj256ELj1El21rocsparse_complex_numIfES1_IdES3_S3_EEvlNS_24const_host_device_scalarIT5_EEPKT1_S9_PKT2_PKT3_PT4_21rocsparse_index_base_b.private_seg_size, 0
	.set _ZN9rocsparseL19coomvn_atomic_loopsILj256ELj1El21rocsparse_complex_numIfES1_IdES3_S3_EEvlNS_24const_host_device_scalarIT5_EEPKT1_S9_PKT2_PKT3_PT4_21rocsparse_index_base_b.uses_vcc, 1
	.set _ZN9rocsparseL19coomvn_atomic_loopsILj256ELj1El21rocsparse_complex_numIfES1_IdES3_S3_EEvlNS_24const_host_device_scalarIT5_EEPKT1_S9_PKT2_PKT3_PT4_21rocsparse_index_base_b.uses_flat_scratch, 0
	.set _ZN9rocsparseL19coomvn_atomic_loopsILj256ELj1El21rocsparse_complex_numIfES1_IdES3_S3_EEvlNS_24const_host_device_scalarIT5_EEPKT1_S9_PKT2_PKT3_PT4_21rocsparse_index_base_b.has_dyn_sized_stack, 0
	.set _ZN9rocsparseL19coomvn_atomic_loopsILj256ELj1El21rocsparse_complex_numIfES1_IdES3_S3_EEvlNS_24const_host_device_scalarIT5_EEPKT1_S9_PKT2_PKT3_PT4_21rocsparse_index_base_b.has_recursion, 0
	.set _ZN9rocsparseL19coomvn_atomic_loopsILj256ELj1El21rocsparse_complex_numIfES1_IdES3_S3_EEvlNS_24const_host_device_scalarIT5_EEPKT1_S9_PKT2_PKT3_PT4_21rocsparse_index_base_b.has_indirect_call, 0
	.section	.AMDGPU.csdata,"",@progbits
; Kernel info:
; codeLenInByte = 1640
; TotalNumSgprs: 20
; NumVgprs: 19
; ScratchSize: 0
; MemoryBound: 0
; FloatMode: 240
; IeeeMode: 1
; LDSByteSize: 6144 bytes/workgroup (compile time only)
; SGPRBlocks: 2
; VGPRBlocks: 4
; NumSGPRsForWavesPerEU: 20
; NumVGPRsForWavesPerEU: 19
; Occupancy: 10
; WaveLimiterHint : 1
; COMPUTE_PGM_RSRC2:SCRATCH_EN: 0
; COMPUTE_PGM_RSRC2:USER_SGPR: 6
; COMPUTE_PGM_RSRC2:TRAP_HANDLER: 0
; COMPUTE_PGM_RSRC2:TGID_X_EN: 1
; COMPUTE_PGM_RSRC2:TGID_Y_EN: 0
; COMPUTE_PGM_RSRC2:TGID_Z_EN: 0
; COMPUTE_PGM_RSRC2:TIDIG_COMP_CNT: 0
	.section	.text._ZN9rocsparseL19coomvn_atomic_loopsILj256ELj2El21rocsparse_complex_numIfES1_IdES3_S3_EEvlNS_24const_host_device_scalarIT5_EEPKT1_S9_PKT2_PKT3_PT4_21rocsparse_index_base_b,"axG",@progbits,_ZN9rocsparseL19coomvn_atomic_loopsILj256ELj2El21rocsparse_complex_numIfES1_IdES3_S3_EEvlNS_24const_host_device_scalarIT5_EEPKT1_S9_PKT2_PKT3_PT4_21rocsparse_index_base_b,comdat
	.globl	_ZN9rocsparseL19coomvn_atomic_loopsILj256ELj2El21rocsparse_complex_numIfES1_IdES3_S3_EEvlNS_24const_host_device_scalarIT5_EEPKT1_S9_PKT2_PKT3_PT4_21rocsparse_index_base_b ; -- Begin function _ZN9rocsparseL19coomvn_atomic_loopsILj256ELj2El21rocsparse_complex_numIfES1_IdES3_S3_EEvlNS_24const_host_device_scalarIT5_EEPKT1_S9_PKT2_PKT3_PT4_21rocsparse_index_base_b
	.p2align	8
	.type	_ZN9rocsparseL19coomvn_atomic_loopsILj256ELj2El21rocsparse_complex_numIfES1_IdES3_S3_EEvlNS_24const_host_device_scalarIT5_EEPKT1_S9_PKT2_PKT3_PT4_21rocsparse_index_base_b,@function
_ZN9rocsparseL19coomvn_atomic_loopsILj256ELj2El21rocsparse_complex_numIfES1_IdES3_S3_EEvlNS_24const_host_device_scalarIT5_EEPKT1_S9_PKT2_PKT3_PT4_21rocsparse_index_base_b: ; @_ZN9rocsparseL19coomvn_atomic_loopsILj256ELj2El21rocsparse_complex_numIfES1_IdES3_S3_EEvlNS_24const_host_device_scalarIT5_EEPKT1_S9_PKT2_PKT3_PT4_21rocsparse_index_base_b
; %bb.0:
	s_load_dwordx2 s[34:35], s[4:5], 0x40
	s_load_dwordx4 s[36:39], s[4:5], 0x0
	s_or_b32 s0, s4, 8
	s_waitcnt lgkmcnt(0)
	s_bitcmp1_b32 s35, 0
	s_cselect_b32 s1, s5, s39
	s_cselect_b32 s0, s0, s38
	v_mov_b32_e32 v1, s0
	v_mov_b32_e32 v2, s1
	flat_load_dwordx4 v[1:4], v[1:2]
	s_waitcnt vmcnt(0) lgkmcnt(0)
	v_cmp_neq_f64_e32 vcc, 0, v[1:2]
	v_cmp_neq_f64_e64 s[0:1], 0, v[3:4]
	s_or_b64 s[0:1], vcc, s[0:1]
	s_and_saveexec_b64 s[2:3], s[0:1]
	s_cbranch_execz .LBB107_105
; %bb.1:
	s_load_dwordx8 s[24:31], s[4:5], 0x18
	v_mov_b32_e32 v5, 0
	v_lshl_or_b32 v15, s6, 9, v0
	v_mov_b32_e32 v16, 0
	v_mov_b32_e32 v6, 0
	v_cmp_gt_i64_e32 vcc, s[36:37], v[15:16]
	v_mov_b32_e32 v9, -1
	v_lshlrev_b64 v[13:14], 3, v[15:16]
	v_mov_b32_e32 v8, v6
	v_mov_b32_e32 v10, -1
	v_mov_b32_e32 v7, v5
	s_and_saveexec_b64 s[0:1], vcc
	s_cbranch_execz .LBB107_3
; %bb.2:
	s_waitcnt lgkmcnt(0)
	v_mov_b32_e32 v6, s27
	v_add_co_u32_e32 v5, vcc, s26, v13
	v_addc_co_u32_e32 v6, vcc, v6, v14, vcc
	global_load_dwordx2 v[5:6], v[5:6], off glc slc
	v_mov_b32_e32 v8, s29
	v_add_co_u32_e32 v7, vcc, s28, v13
	v_addc_co_u32_e32 v8, vcc, v8, v14, vcc
	global_load_dwordx2 v[11:12], v[7:8], off glc slc
	v_mov_b32_e32 v9, s31
	s_waitcnt vmcnt(1)
	v_subrev_co_u32_e32 v5, vcc, s34, v5
	v_subbrev_co_u32_e32 v6, vcc, 0, v6, vcc
	v_lshlrev_b64 v[5:6], 4, v[5:6]
	v_add_co_u32_e32 v5, vcc, s30, v5
	v_addc_co_u32_e32 v6, vcc, v9, v6, vcc
	global_load_dwordx4 v[7:10], v[5:6], off
	v_mov_b32_e32 v6, s25
	v_add_co_u32_e32 v5, vcc, s24, v13
	v_addc_co_u32_e32 v6, vcc, v6, v14, vcc
	global_load_dwordx2 v[16:17], v[5:6], off glc slc
	s_waitcnt vmcnt(2)
	v_cvt_f64_f32_e32 v[18:19], v12
	v_cvt_f64_f32_e32 v[5:6], v11
	s_waitcnt vmcnt(1)
	v_mul_f64 v[11:12], v[9:10], -v[18:19]
	v_mul_f64 v[9:10], v[9:10], v[5:6]
	v_fma_f64 v[5:6], v[5:6], v[7:8], v[11:12]
	v_fma_f64 v[7:8], v[18:19], v[7:8], v[9:10]
	s_waitcnt vmcnt(0)
	v_subrev_co_u32_e32 v9, vcc, s34, v16
	v_subbrev_co_u32_e32 v10, vcc, 0, v17, vcc
.LBB107_3:
	s_or_b64 exec, exec, s[0:1]
	v_lshlrev_b32_e32 v11, 3, v0
	v_or_b32_e32 v23, 0x1000, v11
	v_lshlrev_b32_e32 v24, 4, v0
	v_cmp_eq_u32_e64 s[18:19], 0, v0
	v_cmp_ne_u32_e64 s[0:1], 0, v0
	v_add_u32_e32 v25, -8, v23
	ds_write_b64 v11, v[9:10] offset:4096
	ds_write_b128 v24, v[5:8]
	s_waitcnt lgkmcnt(0)
	s_barrier
	s_and_saveexec_b64 s[2:3], s[0:1]
	s_cbranch_execz .LBB107_7
; %bb.4:
	ds_read_b64 v[11:12], v25
	s_waitcnt lgkmcnt(0)
	v_cmp_eq_u64_e32 vcc, v[9:10], v[11:12]
	s_and_saveexec_b64 s[6:7], vcc
	s_cbranch_execz .LBB107_6
; %bb.5:
	v_add_u32_e32 v11, -16, v24
	ds_read_b128 v[16:19], v11
	s_waitcnt lgkmcnt(0)
	v_add_f64 v[5:6], v[5:6], v[16:17]
	v_add_f64 v[7:8], v[7:8], v[18:19]
.LBB107_6:
	s_or_b64 exec, exec, s[6:7]
.LBB107_7:
	s_or_b64 exec, exec, s[2:3]
	v_cmp_lt_u32_e64 s[2:3], 1, v0
	v_add_u32_e32 v26, -16, v23
	s_barrier
	ds_write_b128 v24, v[5:8]
	s_waitcnt lgkmcnt(0)
	s_barrier
	s_and_saveexec_b64 s[6:7], s[2:3]
	s_cbranch_execz .LBB107_11
; %bb.8:
	ds_read_b64 v[11:12], v26
	s_waitcnt lgkmcnt(0)
	v_cmp_eq_u64_e32 vcc, v[9:10], v[11:12]
	s_and_saveexec_b64 s[8:9], vcc
	s_cbranch_execz .LBB107_10
; %bb.9:
	v_subrev_u32_e32 v11, 32, v24
	ds_read_b128 v[16:19], v11
	s_waitcnt lgkmcnt(0)
	v_add_f64 v[5:6], v[5:6], v[16:17]
	v_add_f64 v[7:8], v[7:8], v[18:19]
.LBB107_10:
	s_or_b64 exec, exec, s[8:9]
.LBB107_11:
	s_or_b64 exec, exec, s[6:7]
	v_cmp_lt_u32_e64 s[20:21], 3, v0
	v_subrev_u32_e32 v27, 32, v23
	s_barrier
	ds_write_b128 v24, v[5:8]
	s_waitcnt lgkmcnt(0)
	s_barrier
	s_and_saveexec_b64 s[6:7], s[20:21]
	s_cbranch_execz .LBB107_15
; %bb.12:
	ds_read_b64 v[11:12], v27
	s_waitcnt lgkmcnt(0)
	v_cmp_eq_u64_e32 vcc, v[9:10], v[11:12]
	s_and_saveexec_b64 s[8:9], vcc
	s_cbranch_execz .LBB107_14
; %bb.13:
	v_subrev_u32_e32 v11, 64, v24
	ds_read_b128 v[16:19], v11
	s_waitcnt lgkmcnt(0)
	v_add_f64 v[5:6], v[5:6], v[16:17]
	v_add_f64 v[7:8], v[7:8], v[18:19]
.LBB107_14:
	s_or_b64 exec, exec, s[8:9]
.LBB107_15:
	s_or_b64 exec, exec, s[6:7]
	v_cmp_lt_u32_e64 s[6:7], 7, v0
	v_subrev_u32_e32 v28, 64, v23
	s_barrier
	ds_write_b128 v24, v[5:8]
	s_waitcnt lgkmcnt(0)
	s_barrier
	s_and_saveexec_b64 s[8:9], s[6:7]
	s_cbranch_execz .LBB107_19
; %bb.16:
	ds_read_b64 v[11:12], v28
	s_waitcnt lgkmcnt(0)
	v_cmp_eq_u64_e32 vcc, v[9:10], v[11:12]
	s_and_saveexec_b64 s[10:11], vcc
	s_cbranch_execz .LBB107_18
; %bb.17:
	v_add_u32_e32 v11, 0xffffff80, v24
	ds_read_b128 v[16:19], v11
	s_waitcnt lgkmcnt(0)
	v_add_f64 v[5:6], v[5:6], v[16:17]
	v_add_f64 v[7:8], v[7:8], v[18:19]
.LBB107_18:
	s_or_b64 exec, exec, s[10:11]
.LBB107_19:
	s_or_b64 exec, exec, s[8:9]
	v_cmp_lt_u32_e64 s[8:9], 15, v0
	s_barrier
	ds_write_b128 v24, v[5:8]
	s_waitcnt lgkmcnt(0)
	s_barrier
	s_and_saveexec_b64 s[10:11], s[8:9]
	s_cbranch_execz .LBB107_23
; %bb.20:
	v_add_u32_e32 v11, 0xffffff80, v23
	ds_read_b64 v[11:12], v11
	s_waitcnt lgkmcnt(0)
	v_cmp_eq_u64_e32 vcc, v[9:10], v[11:12]
	s_and_saveexec_b64 s[12:13], vcc
	s_cbranch_execz .LBB107_22
; %bb.21:
	v_add_u32_e32 v11, 0xffffff00, v24
	ds_read_b128 v[16:19], v11
	s_waitcnt lgkmcnt(0)
	v_add_f64 v[5:6], v[5:6], v[16:17]
	v_add_f64 v[7:8], v[7:8], v[18:19]
.LBB107_22:
	s_or_b64 exec, exec, s[12:13]
.LBB107_23:
	s_or_b64 exec, exec, s[10:11]
	v_cmp_lt_u32_e64 s[10:11], 31, v0
	s_barrier
	ds_write_b128 v24, v[5:8]
	s_waitcnt lgkmcnt(0)
	s_barrier
	s_and_saveexec_b64 s[12:13], s[10:11]
	s_cbranch_execz .LBB107_27
; %bb.24:
	v_add_u32_e32 v11, 0xffffff00, v23
	ds_read_b64 v[11:12], v11
	s_waitcnt lgkmcnt(0)
	v_cmp_eq_u64_e32 vcc, v[9:10], v[11:12]
	s_and_saveexec_b64 s[14:15], vcc
	s_cbranch_execz .LBB107_26
; %bb.25:
	v_add_u32_e32 v11, 0xfffffe00, v24
	ds_read_b128 v[16:19], v11
	s_waitcnt lgkmcnt(0)
	v_add_f64 v[5:6], v[5:6], v[16:17]
	v_add_f64 v[7:8], v[7:8], v[18:19]
.LBB107_26:
	s_or_b64 exec, exec, s[14:15]
.LBB107_27:
	;; [unrolled: 24-line block ×3, first 2 shown]
	s_or_b64 exec, exec, s[14:15]
	s_load_dwordx2 s[22:23], s[4:5], 0x38
	s_movk_i32 s4, 0x7f
	v_cmp_lt_u32_e64 s[14:15], s4, v0
	s_waitcnt lgkmcnt(0)
	s_barrier
	ds_write_b128 v24, v[5:8]
	s_waitcnt lgkmcnt(0)
	s_barrier
	s_and_saveexec_b64 s[4:5], s[14:15]
	s_cbranch_execz .LBB107_35
; %bb.32:
	v_add_u32_e32 v11, 0xfffffc00, v23
	ds_read_b64 v[11:12], v11
	s_waitcnt lgkmcnt(0)
	v_cmp_eq_u64_e32 vcc, v[9:10], v[11:12]
	s_and_saveexec_b64 s[16:17], vcc
	s_cbranch_execz .LBB107_34
; %bb.33:
	v_add_u32_e32 v11, 0xfffff800, v24
	ds_read_b128 v[16:19], v11
	s_waitcnt lgkmcnt(0)
	v_add_f64 v[5:6], v[5:6], v[16:17]
	v_add_f64 v[7:8], v[7:8], v[18:19]
.LBB107_34:
	s_or_b64 exec, exec, s[16:17]
.LBB107_35:
	s_or_b64 exec, exec, s[4:5]
	s_movk_i32 s4, 0xff
	v_cmp_gt_u32_e64 s[16:17], s4, v0
	s_barrier
	ds_write_b128 v24, v[5:8]
	s_waitcnt lgkmcnt(0)
	s_barrier
	s_and_saveexec_b64 s[38:39], s[16:17]
	s_cbranch_execz .LBB107_41
; %bb.36:
	ds_read_b64 v[11:12], v23 offset:8
	v_cmp_lt_i64_e64 s[4:5], -1, v[9:10]
	s_waitcnt lgkmcnt(0)
	v_cmp_ne_u64_e32 vcc, v[9:10], v[11:12]
	s_and_b64 s[4:5], s[4:5], vcc
	s_and_b64 exec, exec, s[4:5]
	s_cbranch_execz .LBB107_41
; %bb.37:
	v_lshlrev_b64 v[9:10], 4, v[9:10]
	v_mov_b32_e32 v11, s23
	v_add_co_u32_e32 v16, vcc, s22, v9
	v_addc_co_u32_e32 v17, vcc, v11, v10, vcc
	global_load_dwordx2 v[11:12], v[16:17], off
	v_mul_f64 v[9:10], v[7:8], -v[3:4]
	s_mov_b64 s[4:5], 0
	v_fma_f64 v[18:19], v[1:2], v[5:6], v[9:10]
.LBB107_38:                             ; =>This Inner Loop Header: Depth=1
	s_waitcnt vmcnt(0)
	v_add_f64 v[9:10], v[11:12], v[18:19]
	global_atomic_cmpswap_x2 v[9:10], v[16:17], v[9:12], off glc
	s_waitcnt vmcnt(0)
	v_cmp_eq_u64_e32 vcc, v[9:10], v[11:12]
	v_mov_b32_e32 v12, v10
	s_or_b64 s[4:5], vcc, s[4:5]
	v_mov_b32_e32 v11, v9
	s_andn2_b64 exec, exec, s[4:5]
	s_cbranch_execnz .LBB107_38
; %bb.39:
	s_or_b64 exec, exec, s[4:5]
	global_load_dwordx2 v[9:10], v[16:17], off offset:8
	v_mul_f64 v[7:8], v[1:2], v[7:8]
	s_mov_b64 s[4:5], 0
	v_fma_f64 v[5:6], v[3:4], v[5:6], v[7:8]
.LBB107_40:                             ; =>This Inner Loop Header: Depth=1
	s_waitcnt vmcnt(0)
	v_add_f64 v[7:8], v[9:10], v[5:6]
	global_atomic_cmpswap_x2 v[7:8], v[16:17], v[7:10], off offset:8 glc
	s_waitcnt vmcnt(0)
	v_cmp_eq_u64_e32 vcc, v[7:8], v[9:10]
	v_mov_b32_e32 v10, v8
	s_or_b64 s[4:5], vcc, s[4:5]
	v_mov_b32_e32 v9, v7
	s_andn2_b64 exec, exec, s[4:5]
	s_cbranch_execnz .LBB107_40
.LBB107_41:
	s_or_b64 exec, exec, s[38:39]
	v_add_co_u32_e32 v5, vcc, 0x100, v15
	v_addc_co_u32_e64 v6, s[4:5], 0, 0, vcc
	v_cmp_gt_i64_e32 vcc, s[36:37], v[5:6]
	v_mov_b32_e32 v17, -1
	v_mov_b32_e32 v5, 0
	v_mov_b32_e32 v7, 0
	v_mov_b32_e32 v18, -1
	v_mov_b32_e32 v6, 0
	v_mov_b32_e32 v8, 0
	s_and_saveexec_b64 s[4:5], vcc
	s_cbranch_execz .LBB107_43
; %bb.42:
	v_mov_b32_e32 v6, s27
	v_add_co_u32_e32 v5, vcc, s26, v13
	v_addc_co_u32_e32 v6, vcc, v6, v14, vcc
	global_load_dwordx2 v[5:6], v[5:6], off offset:2048 glc slc
	v_mov_b32_e32 v8, s29
	v_add_co_u32_e32 v7, vcc, s28, v13
	v_addc_co_u32_e32 v8, vcc, v8, v14, vcc
	global_load_dwordx2 v[11:12], v[7:8], off offset:2048 glc slc
	v_mov_b32_e32 v9, s31
	s_waitcnt vmcnt(1)
	v_subrev_co_u32_e32 v5, vcc, s34, v5
	v_subbrev_co_u32_e32 v6, vcc, 0, v6, vcc
	v_lshlrev_b64 v[5:6], 4, v[5:6]
	v_add_co_u32_e32 v5, vcc, s30, v5
	v_addc_co_u32_e32 v6, vcc, v9, v6, vcc
	global_load_dwordx4 v[7:10], v[5:6], off
	v_mov_b32_e32 v6, s25
	v_add_co_u32_e32 v5, vcc, s24, v13
	v_addc_co_u32_e32 v6, vcc, v6, v14, vcc
	global_load_dwordx2 v[13:14], v[5:6], off offset:2048 glc slc
	s_waitcnt vmcnt(2)
	v_cvt_f64_f32_e32 v[15:16], v12
	v_cvt_f64_f32_e32 v[5:6], v11
	s_waitcnt vmcnt(1)
	v_mul_f64 v[11:12], v[9:10], -v[15:16]
	v_mul_f64 v[9:10], v[9:10], v[5:6]
	s_waitcnt vmcnt(0)
	v_subrev_co_u32_e32 v17, vcc, s34, v13
	v_fma_f64 v[5:6], v[5:6], v[7:8], v[11:12]
	v_fma_f64 v[7:8], v[15:16], v[7:8], v[9:10]
	v_subbrev_co_u32_e32 v18, vcc, 0, v14, vcc
.LBB107_43:
	s_or_b64 exec, exec, s[4:5]
	s_and_saveexec_b64 s[4:5], s[18:19]
	s_cbranch_execz .LBB107_62
; %bb.44:
	v_mov_b32_e32 v9, 0
	ds_read_b64 v[13:14], v9 offset:6136
	s_waitcnt lgkmcnt(0)
	v_cmp_ne_u64_e32 vcc, v[17:18], v[13:14]
	s_and_saveexec_b64 s[18:19], vcc
	s_xor_b64 s[18:19], exec, s[18:19]
	s_cbranch_execz .LBB107_59
; %bb.45:
	v_cmp_gt_i64_e32 vcc, 0, v[13:14]
	s_cbranch_vccnz .LBB107_59
; %bb.46:
	v_mov_b32_e32 v9, 0
	ds_read_b128 v[9:12], v9 offset:4080
	v_mov_b32_e32 v21, 0
	s_mov_b64 s[24:25], exec
	v_bfrev_b32_e32 v22, 1
	s_waitcnt lgkmcnt(0)
	v_mul_f64 v[15:16], v[11:12], -v[3:4]
	v_fma_f64 v[15:16], v[1:2], v[9:10], v[15:16]
.LBB107_47:                             ; =>This Inner Loop Header: Depth=1
	s_ff1_i32_b64 s28, s[24:25]
	v_readlane_b32 s27, v16, s28
	v_readlane_b32 s26, v15, s28
	v_add_f64 v[21:22], v[21:22], s[26:27]
	s_lshl_b64 s[26:27], 1, s28
	s_andn2_b64 s[24:25], s[24:25], s[26:27]
	s_cmp_lg_u64 s[24:25], 0
	s_cbranch_scc1 .LBB107_47
; %bb.48:
	v_lshlrev_b64 v[13:14], 4, v[13:14]
	v_mov_b32_e32 v15, s23
	v_add_co_u32_e32 v19, vcc, s22, v13
	v_mbcnt_lo_u32_b32 v13, exec_lo, 0
	v_addc_co_u32_e32 v20, vcc, v15, v14, vcc
	v_mbcnt_hi_u32_b32 v13, exec_hi, v13
	v_cmp_eq_u32_e32 vcc, 0, v13
	s_and_saveexec_b64 s[24:25], vcc
	s_xor_b64 s[24:25], exec, s[24:25]
	s_cbranch_execz .LBB107_52
; %bb.49:
	global_load_dwordx2 v[15:16], v[19:20], off
	s_mov_b64 s[26:27], 0
.LBB107_50:                             ; =>This Inner Loop Header: Depth=1
	s_waitcnt vmcnt(0)
	v_add_f64 v[13:14], v[15:16], v[21:22]
	global_atomic_cmpswap_x2 v[13:14], v[19:20], v[13:16], off glc
	s_waitcnt vmcnt(0)
	v_cmp_eq_u64_e32 vcc, v[13:14], v[15:16]
	v_mov_b32_e32 v16, v14
	s_or_b64 s[26:27], vcc, s[26:27]
	v_mov_b32_e32 v15, v13
	s_andn2_b64 exec, exec, s[26:27]
	s_cbranch_execnz .LBB107_50
; %bb.51:
	s_or_b64 exec, exec, s[26:27]
.LBB107_52:
	s_or_b64 exec, exec, s[24:25]
	v_mul_f64 v[11:12], v[1:2], v[11:12]
	v_mov_b32_e32 v13, 0
	s_mov_b64 s[24:25], exec
	v_bfrev_b32_e32 v14, 1
	v_fma_f64 v[9:10], v[3:4], v[9:10], v[11:12]
.LBB107_53:                             ; =>This Inner Loop Header: Depth=1
	s_ff1_i32_b64 s28, s[24:25]
	v_readlane_b32 s27, v10, s28
	v_readlane_b32 s26, v9, s28
	v_add_f64 v[13:14], v[13:14], s[26:27]
	s_lshl_b64 s[26:27], 1, s28
	s_andn2_b64 s[24:25], s[24:25], s[26:27]
	s_cmp_lg_u64 s[24:25], 0
	s_cbranch_scc1 .LBB107_53
; %bb.54:
	v_mbcnt_lo_u32_b32 v9, exec_lo, 0
	v_mbcnt_hi_u32_b32 v9, exec_hi, v9
	v_cmp_eq_u32_e32 vcc, 0, v9
	s_and_saveexec_b64 s[24:25], vcc
	s_xor_b64 s[24:25], exec, s[24:25]
	s_cbranch_execz .LBB107_58
; %bb.55:
	global_load_dwordx2 v[11:12], v[19:20], off offset:8
	s_mov_b64 s[26:27], 0
.LBB107_56:                             ; =>This Inner Loop Header: Depth=1
	s_waitcnt vmcnt(0)
	v_add_f64 v[9:10], v[11:12], v[13:14]
	global_atomic_cmpswap_x2 v[9:10], v[19:20], v[9:12], off offset:8 glc
	s_waitcnt vmcnt(0)
	v_cmp_eq_u64_e32 vcc, v[9:10], v[11:12]
	v_mov_b32_e32 v12, v10
	s_or_b64 s[26:27], vcc, s[26:27]
	v_mov_b32_e32 v11, v9
	s_andn2_b64 exec, exec, s[26:27]
	s_cbranch_execnz .LBB107_56
; %bb.57:
	s_or_b64 exec, exec, s[26:27]
.LBB107_58:
	s_or_b64 exec, exec, s[24:25]
.LBB107_59:
	s_andn2_saveexec_b64 s[18:19], s[18:19]
	s_cbranch_execz .LBB107_61
; %bb.60:
	v_mov_b32_e32 v9, 0
	ds_read_b128 v[9:12], v9 offset:4080
	s_waitcnt lgkmcnt(0)
	v_add_f64 v[5:6], v[5:6], v[9:10]
	v_add_f64 v[7:8], v[7:8], v[11:12]
.LBB107_61:
	s_or_b64 exec, exec, s[18:19]
.LBB107_62:
	s_or_b64 exec, exec, s[4:5]
	s_barrier
	ds_write_b64 v23, v[17:18]
	ds_write_b128 v24, v[5:8]
	s_waitcnt lgkmcnt(0)
	s_barrier
	s_and_saveexec_b64 s[4:5], s[0:1]
	s_cbranch_execz .LBB107_66
; %bb.63:
	ds_read_b64 v[9:10], v25
	s_waitcnt lgkmcnt(0)
	v_cmp_eq_u64_e32 vcc, v[17:18], v[9:10]
	s_and_saveexec_b64 s[0:1], vcc
	s_cbranch_execz .LBB107_65
; %bb.64:
	v_add_u32_e32 v9, -16, v24
	ds_read_b128 v[9:12], v9
	s_waitcnt lgkmcnt(0)
	v_add_f64 v[5:6], v[5:6], v[9:10]
	v_add_f64 v[7:8], v[7:8], v[11:12]
.LBB107_65:
	s_or_b64 exec, exec, s[0:1]
.LBB107_66:
	s_or_b64 exec, exec, s[4:5]
	s_barrier
	ds_write_b128 v24, v[5:8]
	s_waitcnt lgkmcnt(0)
	s_barrier
	s_and_saveexec_b64 s[0:1], s[2:3]
	s_cbranch_execz .LBB107_70
; %bb.67:
	ds_read_b64 v[9:10], v26
	s_waitcnt lgkmcnt(0)
	v_cmp_eq_u64_e32 vcc, v[17:18], v[9:10]
	s_and_saveexec_b64 s[2:3], vcc
	s_cbranch_execz .LBB107_69
; %bb.68:
	v_subrev_u32_e32 v9, 32, v24
	ds_read_b128 v[9:12], v9
	s_waitcnt lgkmcnt(0)
	v_add_f64 v[5:6], v[5:6], v[9:10]
	v_add_f64 v[7:8], v[7:8], v[11:12]
.LBB107_69:
	s_or_b64 exec, exec, s[2:3]
.LBB107_70:
	s_or_b64 exec, exec, s[0:1]
	s_barrier
	ds_write_b128 v24, v[5:8]
	s_waitcnt lgkmcnt(0)
	s_barrier
	s_and_saveexec_b64 s[0:1], s[20:21]
	s_cbranch_execz .LBB107_74
; %bb.71:
	ds_read_b64 v[9:10], v27
	s_waitcnt lgkmcnt(0)
	v_cmp_eq_u64_e32 vcc, v[17:18], v[9:10]
	s_and_saveexec_b64 s[2:3], vcc
	s_cbranch_execz .LBB107_73
; %bb.72:
	v_subrev_u32_e32 v9, 64, v24
	ds_read_b128 v[9:12], v9
	s_waitcnt lgkmcnt(0)
	v_add_f64 v[5:6], v[5:6], v[9:10]
	v_add_f64 v[7:8], v[7:8], v[11:12]
.LBB107_73:
	s_or_b64 exec, exec, s[2:3]
.LBB107_74:
	s_or_b64 exec, exec, s[0:1]
	s_barrier
	ds_write_b128 v24, v[5:8]
	s_waitcnt lgkmcnt(0)
	s_barrier
	s_and_saveexec_b64 s[0:1], s[6:7]
	s_cbranch_execz .LBB107_78
; %bb.75:
	ds_read_b64 v[9:10], v28
	s_waitcnt lgkmcnt(0)
	v_cmp_eq_u64_e32 vcc, v[17:18], v[9:10]
	s_and_saveexec_b64 s[2:3], vcc
	s_cbranch_execz .LBB107_77
; %bb.76:
	v_add_u32_e32 v9, 0xffffff80, v24
	ds_read_b128 v[9:12], v9
	s_waitcnt lgkmcnt(0)
	v_add_f64 v[5:6], v[5:6], v[9:10]
	v_add_f64 v[7:8], v[7:8], v[11:12]
.LBB107_77:
	s_or_b64 exec, exec, s[2:3]
.LBB107_78:
	s_or_b64 exec, exec, s[0:1]
	s_barrier
	ds_write_b128 v24, v[5:8]
	s_waitcnt lgkmcnt(0)
	s_barrier
	s_and_saveexec_b64 s[0:1], s[8:9]
	s_cbranch_execz .LBB107_82
; %bb.79:
	v_add_u32_e32 v9, 0xffffff80, v23
	ds_read_b64 v[9:10], v9
	s_waitcnt lgkmcnt(0)
	v_cmp_eq_u64_e32 vcc, v[17:18], v[9:10]
	s_and_saveexec_b64 s[2:3], vcc
	s_cbranch_execz .LBB107_81
; %bb.80:
	v_add_u32_e32 v9, 0xffffff00, v24
	ds_read_b128 v[9:12], v9
	s_waitcnt lgkmcnt(0)
	v_add_f64 v[5:6], v[5:6], v[9:10]
	v_add_f64 v[7:8], v[7:8], v[11:12]
.LBB107_81:
	s_or_b64 exec, exec, s[2:3]
.LBB107_82:
	s_or_b64 exec, exec, s[0:1]
	s_barrier
	ds_write_b128 v24, v[5:8]
	s_waitcnt lgkmcnt(0)
	s_barrier
	s_and_saveexec_b64 s[0:1], s[10:11]
	s_cbranch_execz .LBB107_86
; %bb.83:
	v_add_u32_e32 v9, 0xffffff00, v23
	ds_read_b64 v[9:10], v9
	s_waitcnt lgkmcnt(0)
	v_cmp_eq_u64_e32 vcc, v[17:18], v[9:10]
	s_and_saveexec_b64 s[2:3], vcc
	s_cbranch_execz .LBB107_85
; %bb.84:
	v_add_u32_e32 v9, 0xfffffe00, v24
	ds_read_b128 v[9:12], v9
	s_waitcnt lgkmcnt(0)
	v_add_f64 v[5:6], v[5:6], v[9:10]
	v_add_f64 v[7:8], v[7:8], v[11:12]
.LBB107_85:
	s_or_b64 exec, exec, s[2:3]
.LBB107_86:
	;; [unrolled: 23-line block ×4, first 2 shown]
	s_or_b64 exec, exec, s[0:1]
	s_barrier
	ds_write_b128 v24, v[5:8]
	s_waitcnt lgkmcnt(0)
	s_barrier
	s_and_saveexec_b64 s[2:3], s[16:17]
	s_cbranch_execz .LBB107_100
; %bb.95:
	ds_read_b64 v[9:10], v23 offset:8
	v_cmp_lt_i64_e64 s[0:1], -1, v[17:18]
	s_waitcnt lgkmcnt(0)
	v_cmp_ne_u64_e32 vcc, v[17:18], v[9:10]
	s_and_b64 s[0:1], s[0:1], vcc
	s_and_b64 exec, exec, s[0:1]
	s_cbranch_execz .LBB107_100
; %bb.96:
	v_lshlrev_b64 v[9:10], 4, v[17:18]
	v_mov_b32_e32 v11, s23
	v_add_co_u32_e32 v13, vcc, s22, v9
	v_addc_co_u32_e32 v14, vcc, v11, v10, vcc
	global_load_dwordx2 v[11:12], v[13:14], off
	v_mul_f64 v[9:10], v[7:8], -v[3:4]
	s_mov_b64 s[0:1], 0
	v_fma_f64 v[15:16], v[1:2], v[5:6], v[9:10]
.LBB107_97:                             ; =>This Inner Loop Header: Depth=1
	s_waitcnt vmcnt(0)
	v_add_f64 v[9:10], v[11:12], v[15:16]
	global_atomic_cmpswap_x2 v[9:10], v[13:14], v[9:12], off glc
	s_waitcnt vmcnt(0)
	v_cmp_eq_u64_e32 vcc, v[9:10], v[11:12]
	v_mov_b32_e32 v12, v10
	s_or_b64 s[0:1], vcc, s[0:1]
	v_mov_b32_e32 v11, v9
	s_andn2_b64 exec, exec, s[0:1]
	s_cbranch_execnz .LBB107_97
; %bb.98:
	s_or_b64 exec, exec, s[0:1]
	global_load_dwordx2 v[11:12], v[13:14], off offset:8
	v_mul_f64 v[9:10], v[1:2], v[7:8]
	s_mov_b64 s[0:1], 0
	v_fma_f64 v[15:16], v[3:4], v[5:6], v[9:10]
.LBB107_99:                             ; =>This Inner Loop Header: Depth=1
	s_waitcnt vmcnt(0)
	v_add_f64 v[9:10], v[11:12], v[15:16]
	global_atomic_cmpswap_x2 v[9:10], v[13:14], v[9:12], off offset:8 glc
	s_waitcnt vmcnt(0)
	v_cmp_eq_u64_e32 vcc, v[9:10], v[11:12]
	v_mov_b32_e32 v12, v10
	s_or_b64 s[0:1], vcc, s[0:1]
	v_mov_b32_e32 v11, v9
	s_andn2_b64 exec, exec, s[0:1]
	s_cbranch_execnz .LBB107_99
.LBB107_100:
	s_or_b64 exec, exec, s[2:3]
	s_movk_i32 s0, 0xff
	v_cmp_lt_i64_e32 vcc, -1, v[17:18]
	v_cmp_eq_u32_e64 s[0:1], s0, v0
	s_and_b64 s[0:1], s[0:1], vcc
	s_and_b64 exec, exec, s[0:1]
	s_cbranch_execz .LBB107_105
; %bb.101:
	v_lshlrev_b64 v[9:10], 4, v[17:18]
	v_mov_b32_e32 v0, s23
	v_add_co_u32_e32 v13, vcc, s22, v9
	v_addc_co_u32_e32 v14, vcc, v0, v10, vcc
	global_load_dwordx2 v[11:12], v[13:14], off
	v_mul_f64 v[9:10], v[7:8], -v[3:4]
	s_mov_b64 s[0:1], 0
	v_fma_f64 v[15:16], v[1:2], v[5:6], v[9:10]
.LBB107_102:                            ; =>This Inner Loop Header: Depth=1
	s_waitcnt vmcnt(0)
	v_add_f64 v[9:10], v[11:12], v[15:16]
	global_atomic_cmpswap_x2 v[9:10], v[13:14], v[9:12], off glc
	s_waitcnt vmcnt(0)
	v_cmp_eq_u64_e32 vcc, v[9:10], v[11:12]
	v_mov_b32_e32 v12, v10
	s_or_b64 s[0:1], vcc, s[0:1]
	v_mov_b32_e32 v11, v9
	s_andn2_b64 exec, exec, s[0:1]
	s_cbranch_execnz .LBB107_102
; %bb.103:
	s_or_b64 exec, exec, s[0:1]
	global_load_dwordx2 v[9:10], v[13:14], off offset:8
	v_mul_f64 v[0:1], v[1:2], v[7:8]
	s_mov_b64 s[0:1], 0
	v_fma_f64 v[0:1], v[3:4], v[5:6], v[0:1]
.LBB107_104:                            ; =>This Inner Loop Header: Depth=1
	s_waitcnt vmcnt(0)
	v_add_f64 v[7:8], v[9:10], v[0:1]
	global_atomic_cmpswap_x2 v[2:3], v[13:14], v[7:10], off offset:8 glc
	s_waitcnt vmcnt(0)
	v_cmp_eq_u64_e32 vcc, v[2:3], v[9:10]
	v_mov_b32_e32 v10, v3
	s_or_b64 s[0:1], vcc, s[0:1]
	v_mov_b32_e32 v9, v2
	s_andn2_b64 exec, exec, s[0:1]
	s_cbranch_execnz .LBB107_104
.LBB107_105:
	s_endpgm
	.section	.rodata,"a",@progbits
	.p2align	6, 0x0
	.amdhsa_kernel _ZN9rocsparseL19coomvn_atomic_loopsILj256ELj2El21rocsparse_complex_numIfES1_IdES3_S3_EEvlNS_24const_host_device_scalarIT5_EEPKT1_S9_PKT2_PKT3_PT4_21rocsparse_index_base_b
		.amdhsa_group_segment_fixed_size 6144
		.amdhsa_private_segment_fixed_size 0
		.amdhsa_kernarg_size 72
		.amdhsa_user_sgpr_count 6
		.amdhsa_user_sgpr_private_segment_buffer 1
		.amdhsa_user_sgpr_dispatch_ptr 0
		.amdhsa_user_sgpr_queue_ptr 0
		.amdhsa_user_sgpr_kernarg_segment_ptr 1
		.amdhsa_user_sgpr_dispatch_id 0
		.amdhsa_user_sgpr_flat_scratch_init 0
		.amdhsa_user_sgpr_private_segment_size 0
		.amdhsa_uses_dynamic_stack 0
		.amdhsa_system_sgpr_private_segment_wavefront_offset 0
		.amdhsa_system_sgpr_workgroup_id_x 1
		.amdhsa_system_sgpr_workgroup_id_y 0
		.amdhsa_system_sgpr_workgroup_id_z 0
		.amdhsa_system_sgpr_workgroup_info 0
		.amdhsa_system_vgpr_workitem_id 0
		.amdhsa_next_free_vgpr 29
		.amdhsa_next_free_sgpr 40
		.amdhsa_reserve_vcc 1
		.amdhsa_reserve_flat_scratch 0
		.amdhsa_float_round_mode_32 0
		.amdhsa_float_round_mode_16_64 0
		.amdhsa_float_denorm_mode_32 3
		.amdhsa_float_denorm_mode_16_64 3
		.amdhsa_dx10_clamp 1
		.amdhsa_ieee_mode 1
		.amdhsa_fp16_overflow 0
		.amdhsa_exception_fp_ieee_invalid_op 0
		.amdhsa_exception_fp_denorm_src 0
		.amdhsa_exception_fp_ieee_div_zero 0
		.amdhsa_exception_fp_ieee_overflow 0
		.amdhsa_exception_fp_ieee_underflow 0
		.amdhsa_exception_fp_ieee_inexact 0
		.amdhsa_exception_int_div_zero 0
	.end_amdhsa_kernel
	.section	.text._ZN9rocsparseL19coomvn_atomic_loopsILj256ELj2El21rocsparse_complex_numIfES1_IdES3_S3_EEvlNS_24const_host_device_scalarIT5_EEPKT1_S9_PKT2_PKT3_PT4_21rocsparse_index_base_b,"axG",@progbits,_ZN9rocsparseL19coomvn_atomic_loopsILj256ELj2El21rocsparse_complex_numIfES1_IdES3_S3_EEvlNS_24const_host_device_scalarIT5_EEPKT1_S9_PKT2_PKT3_PT4_21rocsparse_index_base_b,comdat
.Lfunc_end107:
	.size	_ZN9rocsparseL19coomvn_atomic_loopsILj256ELj2El21rocsparse_complex_numIfES1_IdES3_S3_EEvlNS_24const_host_device_scalarIT5_EEPKT1_S9_PKT2_PKT3_PT4_21rocsparse_index_base_b, .Lfunc_end107-_ZN9rocsparseL19coomvn_atomic_loopsILj256ELj2El21rocsparse_complex_numIfES1_IdES3_S3_EEvlNS_24const_host_device_scalarIT5_EEPKT1_S9_PKT2_PKT3_PT4_21rocsparse_index_base_b
                                        ; -- End function
	.set _ZN9rocsparseL19coomvn_atomic_loopsILj256ELj2El21rocsparse_complex_numIfES1_IdES3_S3_EEvlNS_24const_host_device_scalarIT5_EEPKT1_S9_PKT2_PKT3_PT4_21rocsparse_index_base_b.num_vgpr, 29
	.set _ZN9rocsparseL19coomvn_atomic_loopsILj256ELj2El21rocsparse_complex_numIfES1_IdES3_S3_EEvlNS_24const_host_device_scalarIT5_EEPKT1_S9_PKT2_PKT3_PT4_21rocsparse_index_base_b.num_agpr, 0
	.set _ZN9rocsparseL19coomvn_atomic_loopsILj256ELj2El21rocsparse_complex_numIfES1_IdES3_S3_EEvlNS_24const_host_device_scalarIT5_EEPKT1_S9_PKT2_PKT3_PT4_21rocsparse_index_base_b.numbered_sgpr, 40
	.set _ZN9rocsparseL19coomvn_atomic_loopsILj256ELj2El21rocsparse_complex_numIfES1_IdES3_S3_EEvlNS_24const_host_device_scalarIT5_EEPKT1_S9_PKT2_PKT3_PT4_21rocsparse_index_base_b.num_named_barrier, 0
	.set _ZN9rocsparseL19coomvn_atomic_loopsILj256ELj2El21rocsparse_complex_numIfES1_IdES3_S3_EEvlNS_24const_host_device_scalarIT5_EEPKT1_S9_PKT2_PKT3_PT4_21rocsparse_index_base_b.private_seg_size, 0
	.set _ZN9rocsparseL19coomvn_atomic_loopsILj256ELj2El21rocsparse_complex_numIfES1_IdES3_S3_EEvlNS_24const_host_device_scalarIT5_EEPKT1_S9_PKT2_PKT3_PT4_21rocsparse_index_base_b.uses_vcc, 1
	.set _ZN9rocsparseL19coomvn_atomic_loopsILj256ELj2El21rocsparse_complex_numIfES1_IdES3_S3_EEvlNS_24const_host_device_scalarIT5_EEPKT1_S9_PKT2_PKT3_PT4_21rocsparse_index_base_b.uses_flat_scratch, 0
	.set _ZN9rocsparseL19coomvn_atomic_loopsILj256ELj2El21rocsparse_complex_numIfES1_IdES3_S3_EEvlNS_24const_host_device_scalarIT5_EEPKT1_S9_PKT2_PKT3_PT4_21rocsparse_index_base_b.has_dyn_sized_stack, 0
	.set _ZN9rocsparseL19coomvn_atomic_loopsILj256ELj2El21rocsparse_complex_numIfES1_IdES3_S3_EEvlNS_24const_host_device_scalarIT5_EEPKT1_S9_PKT2_PKT3_PT4_21rocsparse_index_base_b.has_recursion, 0
	.set _ZN9rocsparseL19coomvn_atomic_loopsILj256ELj2El21rocsparse_complex_numIfES1_IdES3_S3_EEvlNS_24const_host_device_scalarIT5_EEPKT1_S9_PKT2_PKT3_PT4_21rocsparse_index_base_b.has_indirect_call, 0
	.section	.AMDGPU.csdata,"",@progbits
; Kernel info:
; codeLenInByte = 3420
; TotalNumSgprs: 44
; NumVgprs: 29
; ScratchSize: 0
; MemoryBound: 0
; FloatMode: 240
; IeeeMode: 1
; LDSByteSize: 6144 bytes/workgroup (compile time only)
; SGPRBlocks: 5
; VGPRBlocks: 7
; NumSGPRsForWavesPerEU: 44
; NumVGPRsForWavesPerEU: 29
; Occupancy: 8
; WaveLimiterHint : 1
; COMPUTE_PGM_RSRC2:SCRATCH_EN: 0
; COMPUTE_PGM_RSRC2:USER_SGPR: 6
; COMPUTE_PGM_RSRC2:TRAP_HANDLER: 0
; COMPUTE_PGM_RSRC2:TGID_X_EN: 1
; COMPUTE_PGM_RSRC2:TGID_Y_EN: 0
; COMPUTE_PGM_RSRC2:TGID_Z_EN: 0
; COMPUTE_PGM_RSRC2:TIDIG_COMP_CNT: 0
	.section	.AMDGPU.gpr_maximums,"",@progbits
	.set amdgpu.max_num_vgpr, 0
	.set amdgpu.max_num_agpr, 0
	.set amdgpu.max_num_sgpr, 0
	.section	.AMDGPU.csdata,"",@progbits
	.type	__hip_cuid_cccfb96361d36aef,@object ; @__hip_cuid_cccfb96361d36aef
	.section	.bss,"aw",@nobits
	.globl	__hip_cuid_cccfb96361d36aef
__hip_cuid_cccfb96361d36aef:
	.byte	0                               ; 0x0
	.size	__hip_cuid_cccfb96361d36aef, 1

	.ident	"AMD clang version 22.0.0git (https://github.com/RadeonOpenCompute/llvm-project roc-7.2.4 26084 f58b06dce1f9c15707c5f808fd002e18c2accf7e)"
	.section	".note.GNU-stack","",@progbits
	.addrsig
	.addrsig_sym __hip_cuid_cccfb96361d36aef
	.amdgpu_metadata
---
amdhsa.kernels:
  - .args:
      - .offset:         0
        .size:           4
        .value_kind:     by_value
      - .actual_access:  read_only
        .address_space:  global
        .offset:         8
        .size:           8
        .value_kind:     global_buffer
      - .address_space:  global
        .offset:         16
        .size:           8
        .value_kind:     global_buffer
    .group_segment_fixed_size: 1024
    .kernarg_segment_align: 8
    .kernarg_segment_size: 24
    .language:       OpenCL C
    .language_version:
      - 2
      - 0
    .max_flat_workgroup_size: 256
    .name:           _ZN9rocsparseL19csr_max_nnz_per_rowILj256EiiEEvT1_PKT0_PS1_
    .private_segment_fixed_size: 0
    .sgpr_count:     11
    .sgpr_spill_count: 0
    .symbol:         _ZN9rocsparseL19csr_max_nnz_per_rowILj256EiiEEvT1_PKT0_PS1_.kd
    .uniform_work_group_size: 1
    .uses_dynamic_stack: false
    .vgpr_count:     4
    .vgpr_spill_count: 0
    .wavefront_size: 64
  - .args:
      - .offset:         0
        .size:           8
        .value_kind:     by_value
      - .actual_access:  read_only
        .address_space:  global
        .offset:         8
        .size:           8
        .value_kind:     global_buffer
      - .address_space:  global
        .offset:         16
        .size:           8
        .value_kind:     global_buffer
    .group_segment_fixed_size: 2048
    .kernarg_segment_align: 8
    .kernarg_segment_size: 24
    .language:       OpenCL C
    .language_version:
      - 2
      - 0
    .max_flat_workgroup_size: 256
    .name:           _ZN9rocsparseL19csr_max_nnz_per_rowILj256EllEEvT1_PKT0_PS1_
    .private_segment_fixed_size: 0
    .sgpr_count:     11
    .sgpr_spill_count: 0
    .symbol:         _ZN9rocsparseL19csr_max_nnz_per_rowILj256EllEEvT1_PKT0_PS1_.kd
    .uniform_work_group_size: 1
    .uses_dynamic_stack: false
    .vgpr_count:     8
    .vgpr_spill_count: 0
    .wavefront_size: 64
  - .args:
      - .offset:         0
        .size:           8
        .value_kind:     by_value
      - .offset:         8
        .size:           4
        .value_kind:     by_value
      - .offset:         16
        .size:           8
        .value_kind:     by_value
      - .actual_access:  read_only
        .address_space:  global
        .offset:         24
        .size:           8
        .value_kind:     global_buffer
      - .actual_access:  read_only
        .address_space:  global
        .offset:         32
        .size:           8
        .value_kind:     global_buffer
      - .actual_access:  read_only
        .address_space:  global
        .offset:         40
        .size:           8
        .value_kind:     global_buffer
      - .actual_access:  read_only
        .address_space:  global
        .offset:         48
        .size:           8
        .value_kind:     global_buffer
      - .address_space:  global
        .offset:         56
        .size:           8
        .value_kind:     global_buffer
      - .actual_access:  write_only
        .address_space:  global
        .offset:         64
        .size:           8
        .value_kind:     global_buffer
      - .actual_access:  write_only
        .address_space:  global
        .offset:         72
        .size:           8
        .value_kind:     global_buffer
      - .offset:         80
        .size:           4
        .value_kind:     by_value
      - .offset:         84
        .size:           1
        .value_kind:     by_value
    .group_segment_fixed_size: 2048
    .kernarg_segment_align: 8
    .kernarg_segment_size: 88
    .language:       OpenCL C
    .language_version:
      - 2
      - 0
    .max_flat_workgroup_size: 256
    .name:           _ZN9rocsparseL22coomvn_segmented_loopsILj256EiffffEEvlT0_NS_24const_host_device_scalarIT4_EEPKS1_S6_PKT1_PKT2_PT3_PS1_PS3_21rocsparse_index_base_b
    .private_segment_fixed_size: 0
    .sgpr_count:     50
    .sgpr_spill_count: 0
    .symbol:         _ZN9rocsparseL22coomvn_segmented_loopsILj256EiffffEEvlT0_NS_24const_host_device_scalarIT4_EEPKS1_S6_PKT1_PKT2_PT3_PS1_PS3_21rocsparse_index_base_b.kd
    .uniform_work_group_size: 1
    .uses_dynamic_stack: false
    .vgpr_count:     30
    .vgpr_spill_count: 0
    .wavefront_size: 64
  - .args:
      - .offset:         0
        .size:           4
        .value_kind:     by_value
      - .offset:         8
        .size:           8
        .value_kind:     by_value
      - .actual_access:  read_only
        .address_space:  global
        .offset:         16
        .size:           8
        .value_kind:     global_buffer
      - .actual_access:  read_only
        .address_space:  global
        .offset:         24
        .size:           8
        .value_kind:     global_buffer
      - .address_space:  global
        .offset:         32
        .size:           8
        .value_kind:     global_buffer
      - .offset:         40
        .size:           1
        .value_kind:     by_value
    .group_segment_fixed_size: 2048
    .kernarg_segment_align: 8
    .kernarg_segment_size: 44
    .language:       OpenCL C
    .language_version:
      - 2
      - 0
    .max_flat_workgroup_size: 256
    .name:           _ZN9rocsparseL29coomvn_segmented_loops_reduceILj256EiffEEvT0_NS_24const_host_device_scalarIT2_EEPKS1_PKS3_PT1_b
    .private_segment_fixed_size: 0
    .sgpr_count:     34
    .sgpr_spill_count: 0
    .symbol:         _ZN9rocsparseL29coomvn_segmented_loops_reduceILj256EiffEEvT0_NS_24const_host_device_scalarIT2_EEPKS1_PKS3_PT1_b.kd
    .uniform_work_group_size: 1
    .uses_dynamic_stack: false
    .vgpr_count:     25
    .vgpr_spill_count: 0
    .wavefront_size: 64
  - .args:
      - .offset:         0
        .size:           4
        .value_kind:     by_value
      - .offset:         8
        .size:           8
        .value_kind:     by_value
      - .offset:         16
        .size:           8
        .value_kind:     by_value
      - .actual_access:  read_only
        .address_space:  global
        .offset:         24
        .size:           8
        .value_kind:     global_buffer
      - .actual_access:  read_only
        .address_space:  global
        .offset:         32
        .size:           8
        .value_kind:     global_buffer
      - .actual_access:  read_only
        .address_space:  global
        .offset:         40
        .size:           8
        .value_kind:     global_buffer
      - .actual_access:  read_only
        .address_space:  global
        .offset:         48
        .size:           8
        .value_kind:     global_buffer
      - .address_space:  global
        .offset:         56
        .size:           8
        .value_kind:     global_buffer
      - .offset:         64
        .size:           4
        .value_kind:     by_value
      - .offset:         68
        .size:           1
        .value_kind:     by_value
      - .offset:         72
        .size:           4
        .value_kind:     hidden_block_count_x
      - .offset:         76
        .size:           4
        .value_kind:     hidden_block_count_y
      - .offset:         80
        .size:           4
        .value_kind:     hidden_block_count_z
      - .offset:         84
        .size:           2
        .value_kind:     hidden_group_size_x
      - .offset:         86
        .size:           2
        .value_kind:     hidden_group_size_y
      - .offset:         88
        .size:           2
        .value_kind:     hidden_group_size_z
      - .offset:         90
        .size:           2
        .value_kind:     hidden_remainder_x
      - .offset:         92
        .size:           2
        .value_kind:     hidden_remainder_y
      - .offset:         94
        .size:           2
        .value_kind:     hidden_remainder_z
      - .offset:         112
        .size:           8
        .value_kind:     hidden_global_offset_x
      - .offset:         120
        .size:           8
        .value_kind:     hidden_global_offset_y
      - .offset:         128
        .size:           8
        .value_kind:     hidden_global_offset_z
      - .offset:         136
        .size:           2
        .value_kind:     hidden_grid_dims
    .group_segment_fixed_size: 0
    .kernarg_segment_align: 8
    .kernarg_segment_size: 328
    .language:       OpenCL C
    .language_version:
      - 2
      - 0
    .max_flat_workgroup_size: 1024
    .name:           _ZN9rocsparseL13coomvt_kernelILj1024EiffffEEv20rocsparse_operation_lNS_24const_host_device_scalarIT4_EEPKT0_S7_PKT1_PKT2_PT3_21rocsparse_index_base_b
    .private_segment_fixed_size: 0
    .sgpr_count:     22
    .sgpr_spill_count: 0
    .symbol:         _ZN9rocsparseL13coomvt_kernelILj1024EiffffEEv20rocsparse_operation_lNS_24const_host_device_scalarIT4_EEPKT0_S7_PKT1_PKT2_PT3_21rocsparse_index_base_b.kd
    .uniform_work_group_size: 1
    .uses_dynamic_stack: false
    .vgpr_count:     8
    .vgpr_spill_count: 0
    .wavefront_size: 64
  - .args:
      - .offset:         0
        .size:           8
        .value_kind:     by_value
      - .offset:         8
        .size:           8
        .value_kind:     by_value
      - .actual_access:  read_only
        .address_space:  global
        .offset:         16
        .size:           8
        .value_kind:     global_buffer
      - .actual_access:  read_only
        .address_space:  global
        .offset:         24
        .size:           8
        .value_kind:     global_buffer
      - .actual_access:  read_only
        .address_space:  global
        .offset:         32
        .size:           8
        .value_kind:     global_buffer
      - .actual_access:  read_only
        .address_space:  global
        .offset:         40
        .size:           8
        .value_kind:     global_buffer
      - .address_space:  global
        .offset:         48
        .size:           8
        .value_kind:     global_buffer
      - .offset:         56
        .size:           4
        .value_kind:     by_value
      - .offset:         60
        .size:           1
        .value_kind:     by_value
    .group_segment_fixed_size: 2048
    .kernarg_segment_align: 8
    .kernarg_segment_size: 64
    .language:       OpenCL C
    .language_version:
      - 2
      - 0
    .max_flat_workgroup_size: 256
    .name:           _ZN9rocsparseL19coomvn_atomic_loopsILj256ELj1EiffffEEvlNS_24const_host_device_scalarIT5_EEPKT1_S6_PKT2_PKT3_PT4_21rocsparse_index_base_b
    .private_segment_fixed_size: 0
    .sgpr_count:     22
    .sgpr_spill_count: 0
    .symbol:         _ZN9rocsparseL19coomvn_atomic_loopsILj256ELj1EiffffEEvlNS_24const_host_device_scalarIT5_EEPKT1_S6_PKT2_PKT3_PT4_21rocsparse_index_base_b.kd
    .uniform_work_group_size: 1
    .uses_dynamic_stack: false
    .vgpr_count:     9
    .vgpr_spill_count: 0
    .wavefront_size: 64
  - .args:
      - .offset:         0
        .size:           8
        .value_kind:     by_value
      - .offset:         8
        .size:           8
        .value_kind:     by_value
      - .actual_access:  read_only
        .address_space:  global
        .offset:         16
        .size:           8
        .value_kind:     global_buffer
      - .actual_access:  read_only
        .address_space:  global
        .offset:         24
        .size:           8
        .value_kind:     global_buffer
      - .actual_access:  read_only
        .address_space:  global
        .offset:         32
        .size:           8
        .value_kind:     global_buffer
      - .actual_access:  read_only
        .address_space:  global
        .offset:         40
        .size:           8
        .value_kind:     global_buffer
      - .address_space:  global
        .offset:         48
        .size:           8
        .value_kind:     global_buffer
      - .offset:         56
        .size:           4
        .value_kind:     by_value
      - .offset:         60
        .size:           1
        .value_kind:     by_value
    .group_segment_fixed_size: 2048
    .kernarg_segment_align: 8
    .kernarg_segment_size: 64
    .language:       OpenCL C
    .language_version:
      - 2
      - 0
    .max_flat_workgroup_size: 256
    .name:           _ZN9rocsparseL19coomvn_atomic_loopsILj256ELj2EiffffEEvlNS_24const_host_device_scalarIT5_EEPKT1_S6_PKT2_PKT3_PT4_21rocsparse_index_base_b
    .private_segment_fixed_size: 0
    .sgpr_count:     46
    .sgpr_spill_count: 0
    .symbol:         _ZN9rocsparseL19coomvn_atomic_loopsILj256ELj2EiffffEEvlNS_24const_host_device_scalarIT5_EEPKT1_S6_PKT2_PKT3_PT4_21rocsparse_index_base_b.kd
    .uniform_work_group_size: 1
    .uses_dynamic_stack: false
    .vgpr_count:     16
    .vgpr_spill_count: 0
    .wavefront_size: 64
  - .args:
      - .offset:         0
        .size:           8
        .value_kind:     by_value
      - .offset:         8
        .size:           8
        .value_kind:     by_value
      - .offset:         16
        .size:           8
        .value_kind:     by_value
      - .actual_access:  read_only
        .address_space:  global
        .offset:         24
        .size:           8
        .value_kind:     global_buffer
      - .actual_access:  read_only
        .address_space:  global
        .offset:         32
        .size:           8
        .value_kind:     global_buffer
      - .actual_access:  read_only
        .address_space:  global
        .offset:         40
        .size:           8
        .value_kind:     global_buffer
      - .actual_access:  read_only
        .address_space:  global
        .offset:         48
        .size:           8
        .value_kind:     global_buffer
      - .address_space:  global
        .offset:         56
        .size:           8
        .value_kind:     global_buffer
      - .actual_access:  write_only
        .address_space:  global
        .offset:         64
        .size:           8
        .value_kind:     global_buffer
      - .actual_access:  write_only
        .address_space:  global
        .offset:         72
        .size:           8
        .value_kind:     global_buffer
      - .offset:         80
        .size:           4
        .value_kind:     by_value
      - .offset:         84
        .size:           1
        .value_kind:     by_value
    .group_segment_fixed_size: 3072
    .kernarg_segment_align: 8
    .kernarg_segment_size: 88
    .language:       OpenCL C
    .language_version:
      - 2
      - 0
    .max_flat_workgroup_size: 256
    .name:           _ZN9rocsparseL22coomvn_segmented_loopsILj256ElffffEEvlT0_NS_24const_host_device_scalarIT4_EEPKS1_S6_PKT1_PKT2_PT3_PS1_PS3_21rocsparse_index_base_b
    .private_segment_fixed_size: 0
    .sgpr_count:     54
    .sgpr_spill_count: 0
    .symbol:         _ZN9rocsparseL22coomvn_segmented_loopsILj256ElffffEEvlT0_NS_24const_host_device_scalarIT4_EEPKS1_S6_PKT1_PKT2_PT3_PS1_PS3_21rocsparse_index_base_b.kd
    .uniform_work_group_size: 1
    .uses_dynamic_stack: false
    .vgpr_count:     31
    .vgpr_spill_count: 0
    .wavefront_size: 64
  - .args:
      - .offset:         0
        .size:           8
        .value_kind:     by_value
      - .offset:         8
        .size:           8
        .value_kind:     by_value
      - .actual_access:  read_only
        .address_space:  global
        .offset:         16
        .size:           8
        .value_kind:     global_buffer
      - .actual_access:  read_only
        .address_space:  global
        .offset:         24
        .size:           8
        .value_kind:     global_buffer
      - .address_space:  global
        .offset:         32
        .size:           8
        .value_kind:     global_buffer
      - .offset:         40
        .size:           1
        .value_kind:     by_value
    .group_segment_fixed_size: 3072
    .kernarg_segment_align: 8
    .kernarg_segment_size: 44
    .language:       OpenCL C
    .language_version:
      - 2
      - 0
    .max_flat_workgroup_size: 256
    .name:           _ZN9rocsparseL29coomvn_segmented_loops_reduceILj256ElffEEvT0_NS_24const_host_device_scalarIT2_EEPKS1_PKS3_PT1_b
    .private_segment_fixed_size: 0
    .sgpr_count:     32
    .sgpr_spill_count: 0
    .symbol:         _ZN9rocsparseL29coomvn_segmented_loops_reduceILj256ElffEEvT0_NS_24const_host_device_scalarIT2_EEPKS1_PKS3_PT1_b.kd
    .uniform_work_group_size: 1
    .uses_dynamic_stack: false
    .vgpr_count:     31
    .vgpr_spill_count: 0
    .wavefront_size: 64
  - .args:
      - .offset:         0
        .size:           4
        .value_kind:     by_value
      - .offset:         8
        .size:           8
        .value_kind:     by_value
      - .offset:         16
        .size:           8
        .value_kind:     by_value
      - .actual_access:  read_only
        .address_space:  global
        .offset:         24
        .size:           8
        .value_kind:     global_buffer
      - .actual_access:  read_only
        .address_space:  global
        .offset:         32
        .size:           8
        .value_kind:     global_buffer
      - .actual_access:  read_only
        .address_space:  global
        .offset:         40
        .size:           8
        .value_kind:     global_buffer
      - .actual_access:  read_only
        .address_space:  global
        .offset:         48
        .size:           8
        .value_kind:     global_buffer
      - .address_space:  global
        .offset:         56
        .size:           8
        .value_kind:     global_buffer
      - .offset:         64
        .size:           4
        .value_kind:     by_value
      - .offset:         68
        .size:           1
        .value_kind:     by_value
      - .offset:         72
        .size:           4
        .value_kind:     hidden_block_count_x
      - .offset:         76
        .size:           4
        .value_kind:     hidden_block_count_y
      - .offset:         80
        .size:           4
        .value_kind:     hidden_block_count_z
      - .offset:         84
        .size:           2
        .value_kind:     hidden_group_size_x
      - .offset:         86
        .size:           2
        .value_kind:     hidden_group_size_y
      - .offset:         88
        .size:           2
        .value_kind:     hidden_group_size_z
      - .offset:         90
        .size:           2
        .value_kind:     hidden_remainder_x
      - .offset:         92
        .size:           2
        .value_kind:     hidden_remainder_y
      - .offset:         94
        .size:           2
        .value_kind:     hidden_remainder_z
      - .offset:         112
        .size:           8
        .value_kind:     hidden_global_offset_x
      - .offset:         120
        .size:           8
        .value_kind:     hidden_global_offset_y
      - .offset:         128
        .size:           8
        .value_kind:     hidden_global_offset_z
      - .offset:         136
        .size:           2
        .value_kind:     hidden_grid_dims
    .group_segment_fixed_size: 0
    .kernarg_segment_align: 8
    .kernarg_segment_size: 328
    .language:       OpenCL C
    .language_version:
      - 2
      - 0
    .max_flat_workgroup_size: 1024
    .name:           _ZN9rocsparseL13coomvt_kernelILj1024ElffffEEv20rocsparse_operation_lNS_24const_host_device_scalarIT4_EEPKT0_S7_PKT1_PKT2_PT3_21rocsparse_index_base_b
    .private_segment_fixed_size: 0
    .sgpr_count:     22
    .sgpr_spill_count: 0
    .symbol:         _ZN9rocsparseL13coomvt_kernelILj1024ElffffEEv20rocsparse_operation_lNS_24const_host_device_scalarIT4_EEPKT0_S7_PKT1_PKT2_PT3_21rocsparse_index_base_b.kd
    .uniform_work_group_size: 1
    .uses_dynamic_stack: false
    .vgpr_count:     9
    .vgpr_spill_count: 0
    .wavefront_size: 64
  - .args:
      - .offset:         0
        .size:           8
        .value_kind:     by_value
      - .offset:         8
        .size:           8
        .value_kind:     by_value
      - .actual_access:  read_only
        .address_space:  global
        .offset:         16
        .size:           8
        .value_kind:     global_buffer
      - .actual_access:  read_only
        .address_space:  global
        .offset:         24
        .size:           8
        .value_kind:     global_buffer
      - .actual_access:  read_only
        .address_space:  global
        .offset:         32
        .size:           8
        .value_kind:     global_buffer
      - .actual_access:  read_only
        .address_space:  global
        .offset:         40
        .size:           8
        .value_kind:     global_buffer
      - .address_space:  global
        .offset:         48
        .size:           8
        .value_kind:     global_buffer
      - .offset:         56
        .size:           4
        .value_kind:     by_value
      - .offset:         60
        .size:           1
        .value_kind:     by_value
    .group_segment_fixed_size: 3072
    .kernarg_segment_align: 8
    .kernarg_segment_size: 64
    .language:       OpenCL C
    .language_version:
      - 2
      - 0
    .max_flat_workgroup_size: 256
    .name:           _ZN9rocsparseL19coomvn_atomic_loopsILj256ELj1ElffffEEvlNS_24const_host_device_scalarIT5_EEPKT1_S6_PKT2_PKT3_PT4_21rocsparse_index_base_b
    .private_segment_fixed_size: 0
    .sgpr_count:     22
    .sgpr_spill_count: 0
    .symbol:         _ZN9rocsparseL19coomvn_atomic_loopsILj256ELj1ElffffEEvlNS_24const_host_device_scalarIT5_EEPKT1_S6_PKT2_PKT3_PT4_21rocsparse_index_base_b.kd
    .uniform_work_group_size: 1
    .uses_dynamic_stack: false
    .vgpr_count:     11
    .vgpr_spill_count: 0
    .wavefront_size: 64
  - .args:
      - .offset:         0
        .size:           8
        .value_kind:     by_value
      - .offset:         8
        .size:           8
        .value_kind:     by_value
      - .actual_access:  read_only
        .address_space:  global
        .offset:         16
        .size:           8
        .value_kind:     global_buffer
      - .actual_access:  read_only
        .address_space:  global
        .offset:         24
        .size:           8
        .value_kind:     global_buffer
      - .actual_access:  read_only
        .address_space:  global
        .offset:         32
        .size:           8
        .value_kind:     global_buffer
      - .actual_access:  read_only
        .address_space:  global
        .offset:         40
        .size:           8
        .value_kind:     global_buffer
      - .address_space:  global
        .offset:         48
        .size:           8
        .value_kind:     global_buffer
      - .offset:         56
        .size:           4
        .value_kind:     by_value
      - .offset:         60
        .size:           1
        .value_kind:     by_value
    .group_segment_fixed_size: 3072
    .kernarg_segment_align: 8
    .kernarg_segment_size: 64
    .language:       OpenCL C
    .language_version:
      - 2
      - 0
    .max_flat_workgroup_size: 256
    .name:           _ZN9rocsparseL19coomvn_atomic_loopsILj256ELj2ElffffEEvlNS_24const_host_device_scalarIT5_EEPKT1_S6_PKT2_PKT3_PT4_21rocsparse_index_base_b
    .private_segment_fixed_size: 0
    .sgpr_count:     46
    .sgpr_spill_count: 0
    .symbol:         _ZN9rocsparseL19coomvn_atomic_loopsILj256ELj2ElffffEEvlNS_24const_host_device_scalarIT5_EEPKT1_S6_PKT2_PKT3_PT4_21rocsparse_index_base_b.kd
    .uniform_work_group_size: 1
    .uses_dynamic_stack: false
    .vgpr_count:     17
    .vgpr_spill_count: 0
    .wavefront_size: 64
  - .args:
      - .offset:         0
        .size:           8
        .value_kind:     by_value
      - .offset:         8
        .size:           4
        .value_kind:     by_value
      - .offset:         16
        .size:           8
        .value_kind:     by_value
      - .actual_access:  read_only
        .address_space:  global
        .offset:         24
        .size:           8
        .value_kind:     global_buffer
      - .actual_access:  read_only
        .address_space:  global
        .offset:         32
        .size:           8
        .value_kind:     global_buffer
      - .actual_access:  read_only
        .address_space:  global
        .offset:         40
        .size:           8
        .value_kind:     global_buffer
      - .actual_access:  read_only
        .address_space:  global
        .offset:         48
        .size:           8
        .value_kind:     global_buffer
      - .address_space:  global
        .offset:         56
        .size:           8
        .value_kind:     global_buffer
      - .actual_access:  write_only
        .address_space:  global
        .offset:         64
        .size:           8
        .value_kind:     global_buffer
      - .actual_access:  write_only
        .address_space:  global
        .offset:         72
        .size:           8
        .value_kind:     global_buffer
      - .offset:         80
        .size:           4
        .value_kind:     by_value
      - .offset:         84
        .size:           1
        .value_kind:     by_value
    .group_segment_fixed_size: 3072
    .kernarg_segment_align: 8
    .kernarg_segment_size: 88
    .language:       OpenCL C
    .language_version:
      - 2
      - 0
    .max_flat_workgroup_size: 256
    .name:           _ZN9rocsparseL22coomvn_segmented_loopsILj256EiddddEEvlT0_NS_24const_host_device_scalarIT4_EEPKS1_S6_PKT1_PKT2_PT3_PS1_PS3_21rocsparse_index_base_b
    .private_segment_fixed_size: 0
    .sgpr_count:     48
    .sgpr_spill_count: 0
    .symbol:         _ZN9rocsparseL22coomvn_segmented_loopsILj256EiddddEEvlT0_NS_24const_host_device_scalarIT4_EEPKS1_S6_PKT1_PKT2_PT3_PS1_PS3_21rocsparse_index_base_b.kd
    .uniform_work_group_size: 1
    .uses_dynamic_stack: false
    .vgpr_count:     34
    .vgpr_spill_count: 0
    .wavefront_size: 64
  - .args:
      - .offset:         0
        .size:           4
        .value_kind:     by_value
      - .offset:         8
        .size:           8
        .value_kind:     by_value
      - .actual_access:  read_only
        .address_space:  global
        .offset:         16
        .size:           8
        .value_kind:     global_buffer
      - .actual_access:  read_only
        .address_space:  global
        .offset:         24
        .size:           8
        .value_kind:     global_buffer
      - .address_space:  global
        .offset:         32
        .size:           8
        .value_kind:     global_buffer
      - .offset:         40
        .size:           1
        .value_kind:     by_value
    .group_segment_fixed_size: 3072
    .kernarg_segment_align: 8
    .kernarg_segment_size: 44
    .language:       OpenCL C
    .language_version:
      - 2
      - 0
    .max_flat_workgroup_size: 256
    .name:           _ZN9rocsparseL29coomvn_segmented_loops_reduceILj256EiddEEvT0_NS_24const_host_device_scalarIT2_EEPKS1_PKS3_PT1_b
    .private_segment_fixed_size: 0
    .sgpr_count:     34
    .sgpr_spill_count: 0
    .symbol:         _ZN9rocsparseL29coomvn_segmented_loops_reduceILj256EiddEEvT0_NS_24const_host_device_scalarIT2_EEPKS1_PKS3_PT1_b.kd
    .uniform_work_group_size: 1
    .uses_dynamic_stack: false
    .vgpr_count:     24
    .vgpr_spill_count: 0
    .wavefront_size: 64
  - .args:
      - .offset:         0
        .size:           4
        .value_kind:     by_value
      - .offset:         8
        .size:           8
        .value_kind:     by_value
      - .offset:         16
        .size:           8
        .value_kind:     by_value
      - .actual_access:  read_only
        .address_space:  global
        .offset:         24
        .size:           8
        .value_kind:     global_buffer
      - .actual_access:  read_only
        .address_space:  global
        .offset:         32
        .size:           8
        .value_kind:     global_buffer
      - .actual_access:  read_only
        .address_space:  global
        .offset:         40
        .size:           8
        .value_kind:     global_buffer
      - .actual_access:  read_only
        .address_space:  global
        .offset:         48
        .size:           8
        .value_kind:     global_buffer
      - .address_space:  global
        .offset:         56
        .size:           8
        .value_kind:     global_buffer
      - .offset:         64
        .size:           4
        .value_kind:     by_value
      - .offset:         68
        .size:           1
        .value_kind:     by_value
      - .offset:         72
        .size:           4
        .value_kind:     hidden_block_count_x
      - .offset:         76
        .size:           4
        .value_kind:     hidden_block_count_y
      - .offset:         80
        .size:           4
        .value_kind:     hidden_block_count_z
      - .offset:         84
        .size:           2
        .value_kind:     hidden_group_size_x
      - .offset:         86
        .size:           2
        .value_kind:     hidden_group_size_y
      - .offset:         88
        .size:           2
        .value_kind:     hidden_group_size_z
      - .offset:         90
        .size:           2
        .value_kind:     hidden_remainder_x
      - .offset:         92
        .size:           2
        .value_kind:     hidden_remainder_y
      - .offset:         94
        .size:           2
        .value_kind:     hidden_remainder_z
      - .offset:         112
        .size:           8
        .value_kind:     hidden_global_offset_x
      - .offset:         120
        .size:           8
        .value_kind:     hidden_global_offset_y
      - .offset:         128
        .size:           8
        .value_kind:     hidden_global_offset_z
      - .offset:         136
        .size:           2
        .value_kind:     hidden_grid_dims
    .group_segment_fixed_size: 0
    .kernarg_segment_align: 8
    .kernarg_segment_size: 328
    .language:       OpenCL C
    .language_version:
      - 2
      - 0
    .max_flat_workgroup_size: 1024
    .name:           _ZN9rocsparseL13coomvt_kernelILj1024EiddddEEv20rocsparse_operation_lNS_24const_host_device_scalarIT4_EEPKT0_S7_PKT1_PKT2_PT3_21rocsparse_index_base_b
    .private_segment_fixed_size: 0
    .sgpr_count:     22
    .sgpr_spill_count: 0
    .symbol:         _ZN9rocsparseL13coomvt_kernelILj1024EiddddEEv20rocsparse_operation_lNS_24const_host_device_scalarIT4_EEPKT0_S7_PKT1_PKT2_PT3_21rocsparse_index_base_b.kd
    .uniform_work_group_size: 1
    .uses_dynamic_stack: false
    .vgpr_count:     10
    .vgpr_spill_count: 0
    .wavefront_size: 64
  - .args:
      - .offset:         0
        .size:           8
        .value_kind:     by_value
      - .offset:         8
        .size:           8
        .value_kind:     by_value
      - .actual_access:  read_only
        .address_space:  global
        .offset:         16
        .size:           8
        .value_kind:     global_buffer
      - .actual_access:  read_only
        .address_space:  global
        .offset:         24
        .size:           8
        .value_kind:     global_buffer
      - .actual_access:  read_only
        .address_space:  global
        .offset:         32
        .size:           8
        .value_kind:     global_buffer
      - .actual_access:  read_only
        .address_space:  global
        .offset:         40
        .size:           8
        .value_kind:     global_buffer
      - .address_space:  global
        .offset:         48
        .size:           8
        .value_kind:     global_buffer
      - .offset:         56
        .size:           4
        .value_kind:     by_value
      - .offset:         60
        .size:           1
        .value_kind:     by_value
    .group_segment_fixed_size: 3072
    .kernarg_segment_align: 8
    .kernarg_segment_size: 64
    .language:       OpenCL C
    .language_version:
      - 2
      - 0
    .max_flat_workgroup_size: 256
    .name:           _ZN9rocsparseL19coomvn_atomic_loopsILj256ELj1EiddddEEvlNS_24const_host_device_scalarIT5_EEPKT1_S6_PKT2_PKT3_PT4_21rocsparse_index_base_b
    .private_segment_fixed_size: 0
    .sgpr_count:     22
    .sgpr_spill_count: 0
    .symbol:         _ZN9rocsparseL19coomvn_atomic_loopsILj256ELj1EiddddEEvlNS_24const_host_device_scalarIT5_EEPKT1_S6_PKT2_PKT3_PT4_21rocsparse_index_base_b.kd
    .uniform_work_group_size: 1
    .uses_dynamic_stack: false
    .vgpr_count:     14
    .vgpr_spill_count: 0
    .wavefront_size: 64
  - .args:
      - .offset:         0
        .size:           8
        .value_kind:     by_value
      - .offset:         8
        .size:           8
        .value_kind:     by_value
      - .actual_access:  read_only
        .address_space:  global
        .offset:         16
        .size:           8
        .value_kind:     global_buffer
      - .actual_access:  read_only
        .address_space:  global
        .offset:         24
        .size:           8
        .value_kind:     global_buffer
      - .actual_access:  read_only
        .address_space:  global
        .offset:         32
        .size:           8
        .value_kind:     global_buffer
      - .actual_access:  read_only
        .address_space:  global
        .offset:         40
        .size:           8
        .value_kind:     global_buffer
      - .address_space:  global
        .offset:         48
        .size:           8
        .value_kind:     global_buffer
      - .offset:         56
        .size:           4
        .value_kind:     by_value
      - .offset:         60
        .size:           1
        .value_kind:     by_value
    .group_segment_fixed_size: 3072
    .kernarg_segment_align: 8
    .kernarg_segment_size: 64
    .language:       OpenCL C
    .language_version:
      - 2
      - 0
    .max_flat_workgroup_size: 256
    .name:           _ZN9rocsparseL19coomvn_atomic_loopsILj256ELj2EiddddEEvlNS_24const_host_device_scalarIT5_EEPKT1_S6_PKT2_PKT3_PT4_21rocsparse_index_base_b
    .private_segment_fixed_size: 0
    .sgpr_count:     44
    .sgpr_spill_count: 0
    .symbol:         _ZN9rocsparseL19coomvn_atomic_loopsILj256ELj2EiddddEEvlNS_24const_host_device_scalarIT5_EEPKT1_S6_PKT2_PKT3_PT4_21rocsparse_index_base_b.kd
    .uniform_work_group_size: 1
    .uses_dynamic_stack: false
    .vgpr_count:     23
    .vgpr_spill_count: 0
    .wavefront_size: 64
  - .args:
      - .offset:         0
        .size:           8
        .value_kind:     by_value
      - .offset:         8
        .size:           8
        .value_kind:     by_value
      - .offset:         16
        .size:           8
        .value_kind:     by_value
      - .actual_access:  read_only
        .address_space:  global
        .offset:         24
        .size:           8
        .value_kind:     global_buffer
      - .actual_access:  read_only
        .address_space:  global
        .offset:         32
        .size:           8
        .value_kind:     global_buffer
      - .actual_access:  read_only
        .address_space:  global
        .offset:         40
        .size:           8
        .value_kind:     global_buffer
      - .actual_access:  read_only
        .address_space:  global
        .offset:         48
        .size:           8
        .value_kind:     global_buffer
      - .address_space:  global
        .offset:         56
        .size:           8
        .value_kind:     global_buffer
      - .actual_access:  write_only
        .address_space:  global
        .offset:         64
        .size:           8
        .value_kind:     global_buffer
      - .actual_access:  write_only
        .address_space:  global
        .offset:         72
        .size:           8
        .value_kind:     global_buffer
      - .offset:         80
        .size:           4
        .value_kind:     by_value
      - .offset:         84
        .size:           1
        .value_kind:     by_value
    .group_segment_fixed_size: 4096
    .kernarg_segment_align: 8
    .kernarg_segment_size: 88
    .language:       OpenCL C
    .language_version:
      - 2
      - 0
    .max_flat_workgroup_size: 256
    .name:           _ZN9rocsparseL22coomvn_segmented_loopsILj256ElddddEEvlT0_NS_24const_host_device_scalarIT4_EEPKS1_S6_PKT1_PKT2_PT3_PS1_PS3_21rocsparse_index_base_b
    .private_segment_fixed_size: 0
    .sgpr_count:     52
    .sgpr_spill_count: 0
    .symbol:         _ZN9rocsparseL22coomvn_segmented_loopsILj256ElddddEEvlT0_NS_24const_host_device_scalarIT4_EEPKS1_S6_PKT1_PKT2_PT3_PS1_PS3_21rocsparse_index_base_b.kd
    .uniform_work_group_size: 1
    .uses_dynamic_stack: false
    .vgpr_count:     38
    .vgpr_spill_count: 0
    .wavefront_size: 64
  - .args:
      - .offset:         0
        .size:           8
        .value_kind:     by_value
      - .offset:         8
        .size:           8
        .value_kind:     by_value
      - .actual_access:  read_only
        .address_space:  global
        .offset:         16
        .size:           8
        .value_kind:     global_buffer
      - .actual_access:  read_only
        .address_space:  global
        .offset:         24
        .size:           8
        .value_kind:     global_buffer
      - .address_space:  global
        .offset:         32
        .size:           8
        .value_kind:     global_buffer
      - .offset:         40
        .size:           1
        .value_kind:     by_value
    .group_segment_fixed_size: 4096
    .kernarg_segment_align: 8
    .kernarg_segment_size: 44
    .language:       OpenCL C
    .language_version:
      - 2
      - 0
    .max_flat_workgroup_size: 256
    .name:           _ZN9rocsparseL29coomvn_segmented_loops_reduceILj256ElddEEvT0_NS_24const_host_device_scalarIT2_EEPKS1_PKS3_PT1_b
    .private_segment_fixed_size: 0
    .sgpr_count:     32
    .sgpr_spill_count: 0
    .symbol:         _ZN9rocsparseL29coomvn_segmented_loops_reduceILj256ElddEEvT0_NS_24const_host_device_scalarIT2_EEPKS1_PKS3_PT1_b.kd
    .uniform_work_group_size: 1
    .uses_dynamic_stack: false
    .vgpr_count:     26
    .vgpr_spill_count: 0
    .wavefront_size: 64
  - .args:
      - .offset:         0
        .size:           4
        .value_kind:     by_value
      - .offset:         8
        .size:           8
        .value_kind:     by_value
      - .offset:         16
        .size:           8
        .value_kind:     by_value
      - .actual_access:  read_only
        .address_space:  global
        .offset:         24
        .size:           8
        .value_kind:     global_buffer
      - .actual_access:  read_only
        .address_space:  global
        .offset:         32
        .size:           8
        .value_kind:     global_buffer
      - .actual_access:  read_only
        .address_space:  global
        .offset:         40
        .size:           8
        .value_kind:     global_buffer
      - .actual_access:  read_only
        .address_space:  global
        .offset:         48
        .size:           8
        .value_kind:     global_buffer
      - .address_space:  global
        .offset:         56
        .size:           8
        .value_kind:     global_buffer
      - .offset:         64
        .size:           4
        .value_kind:     by_value
      - .offset:         68
        .size:           1
        .value_kind:     by_value
      - .offset:         72
        .size:           4
        .value_kind:     hidden_block_count_x
      - .offset:         76
        .size:           4
        .value_kind:     hidden_block_count_y
      - .offset:         80
        .size:           4
        .value_kind:     hidden_block_count_z
      - .offset:         84
        .size:           2
        .value_kind:     hidden_group_size_x
      - .offset:         86
        .size:           2
        .value_kind:     hidden_group_size_y
      - .offset:         88
        .size:           2
        .value_kind:     hidden_group_size_z
      - .offset:         90
        .size:           2
        .value_kind:     hidden_remainder_x
      - .offset:         92
        .size:           2
        .value_kind:     hidden_remainder_y
      - .offset:         94
        .size:           2
        .value_kind:     hidden_remainder_z
      - .offset:         112
        .size:           8
        .value_kind:     hidden_global_offset_x
      - .offset:         120
        .size:           8
        .value_kind:     hidden_global_offset_y
      - .offset:         128
        .size:           8
        .value_kind:     hidden_global_offset_z
      - .offset:         136
        .size:           2
        .value_kind:     hidden_grid_dims
    .group_segment_fixed_size: 0
    .kernarg_segment_align: 8
    .kernarg_segment_size: 328
    .language:       OpenCL C
    .language_version:
      - 2
      - 0
    .max_flat_workgroup_size: 1024
    .name:           _ZN9rocsparseL13coomvt_kernelILj1024ElddddEEv20rocsparse_operation_lNS_24const_host_device_scalarIT4_EEPKT0_S7_PKT1_PKT2_PT3_21rocsparse_index_base_b
    .private_segment_fixed_size: 0
    .sgpr_count:     22
    .sgpr_spill_count: 0
    .symbol:         _ZN9rocsparseL13coomvt_kernelILj1024ElddddEEv20rocsparse_operation_lNS_24const_host_device_scalarIT4_EEPKT0_S7_PKT1_PKT2_PT3_21rocsparse_index_base_b.kd
    .uniform_work_group_size: 1
    .uses_dynamic_stack: false
    .vgpr_count:     10
    .vgpr_spill_count: 0
    .wavefront_size: 64
  - .args:
      - .offset:         0
        .size:           8
        .value_kind:     by_value
      - .offset:         8
        .size:           8
        .value_kind:     by_value
      - .actual_access:  read_only
        .address_space:  global
        .offset:         16
        .size:           8
        .value_kind:     global_buffer
      - .actual_access:  read_only
        .address_space:  global
        .offset:         24
        .size:           8
        .value_kind:     global_buffer
      - .actual_access:  read_only
        .address_space:  global
        .offset:         32
        .size:           8
        .value_kind:     global_buffer
      - .actual_access:  read_only
        .address_space:  global
        .offset:         40
        .size:           8
        .value_kind:     global_buffer
      - .address_space:  global
        .offset:         48
        .size:           8
        .value_kind:     global_buffer
      - .offset:         56
        .size:           4
        .value_kind:     by_value
      - .offset:         60
        .size:           1
        .value_kind:     by_value
    .group_segment_fixed_size: 4096
    .kernarg_segment_align: 8
    .kernarg_segment_size: 64
    .language:       OpenCL C
    .language_version:
      - 2
      - 0
    .max_flat_workgroup_size: 256
    .name:           _ZN9rocsparseL19coomvn_atomic_loopsILj256ELj1ElddddEEvlNS_24const_host_device_scalarIT5_EEPKT1_S6_PKT2_PKT3_PT4_21rocsparse_index_base_b
    .private_segment_fixed_size: 0
    .sgpr_count:     22
    .sgpr_spill_count: 0
    .symbol:         _ZN9rocsparseL19coomvn_atomic_loopsILj256ELj1ElddddEEvlNS_24const_host_device_scalarIT5_EEPKT1_S6_PKT2_PKT3_PT4_21rocsparse_index_base_b.kd
    .uniform_work_group_size: 1
    .uses_dynamic_stack: false
    .vgpr_count:     15
    .vgpr_spill_count: 0
    .wavefront_size: 64
  - .args:
      - .offset:         0
        .size:           8
        .value_kind:     by_value
      - .offset:         8
        .size:           8
        .value_kind:     by_value
      - .actual_access:  read_only
        .address_space:  global
        .offset:         16
        .size:           8
        .value_kind:     global_buffer
      - .actual_access:  read_only
        .address_space:  global
        .offset:         24
        .size:           8
        .value_kind:     global_buffer
      - .actual_access:  read_only
        .address_space:  global
        .offset:         32
        .size:           8
        .value_kind:     global_buffer
      - .actual_access:  read_only
        .address_space:  global
        .offset:         40
        .size:           8
        .value_kind:     global_buffer
      - .address_space:  global
        .offset:         48
        .size:           8
        .value_kind:     global_buffer
      - .offset:         56
        .size:           4
        .value_kind:     by_value
      - .offset:         60
        .size:           1
        .value_kind:     by_value
    .group_segment_fixed_size: 4096
    .kernarg_segment_align: 8
    .kernarg_segment_size: 64
    .language:       OpenCL C
    .language_version:
      - 2
      - 0
    .max_flat_workgroup_size: 256
    .name:           _ZN9rocsparseL19coomvn_atomic_loopsILj256ELj2ElddddEEvlNS_24const_host_device_scalarIT5_EEPKT1_S6_PKT2_PKT3_PT4_21rocsparse_index_base_b
    .private_segment_fixed_size: 0
    .sgpr_count:     44
    .sgpr_spill_count: 0
    .symbol:         _ZN9rocsparseL19coomvn_atomic_loopsILj256ELj2ElddddEEvlNS_24const_host_device_scalarIT5_EEPKT1_S6_PKT2_PKT3_PT4_21rocsparse_index_base_b.kd
    .uniform_work_group_size: 1
    .uses_dynamic_stack: false
    .vgpr_count:     21
    .vgpr_spill_count: 0
    .wavefront_size: 64
  - .args:
      - .offset:         0
        .size:           8
        .value_kind:     by_value
      - .offset:         8
        .size:           4
        .value_kind:     by_value
      - .offset:         16
        .size:           8
        .value_kind:     by_value
      - .actual_access:  read_only
        .address_space:  global
        .offset:         24
        .size:           8
        .value_kind:     global_buffer
      - .actual_access:  read_only
        .address_space:  global
        .offset:         32
        .size:           8
        .value_kind:     global_buffer
      - .actual_access:  read_only
        .address_space:  global
        .offset:         40
        .size:           8
        .value_kind:     global_buffer
      - .actual_access:  read_only
        .address_space:  global
        .offset:         48
        .size:           8
        .value_kind:     global_buffer
      - .address_space:  global
        .offset:         56
        .size:           8
        .value_kind:     global_buffer
      - .actual_access:  write_only
        .address_space:  global
        .offset:         64
        .size:           8
        .value_kind:     global_buffer
      - .actual_access:  write_only
        .address_space:  global
        .offset:         72
        .size:           8
        .value_kind:     global_buffer
      - .offset:         80
        .size:           4
        .value_kind:     by_value
      - .offset:         84
        .size:           1
        .value_kind:     by_value
    .group_segment_fixed_size: 3072
    .kernarg_segment_align: 8
    .kernarg_segment_size: 88
    .language:       OpenCL C
    .language_version:
      - 2
      - 0
    .max_flat_workgroup_size: 256
    .name:           _ZN9rocsparseL22coomvn_segmented_loopsILj256Ei21rocsparse_complex_numIfES2_S2_S2_EEvlT0_NS_24const_host_device_scalarIT4_EEPKS3_S8_PKT1_PKT2_PT3_PS3_PS5_21rocsparse_index_base_b
    .private_segment_fixed_size: 0
    .sgpr_count:     48
    .sgpr_spill_count: 0
    .symbol:         _ZN9rocsparseL22coomvn_segmented_loopsILj256Ei21rocsparse_complex_numIfES2_S2_S2_EEvlT0_NS_24const_host_device_scalarIT4_EEPKS3_S8_PKT1_PKT2_PT3_PS3_PS5_21rocsparse_index_base_b.kd
    .uniform_work_group_size: 1
    .uses_dynamic_stack: false
    .vgpr_count:     35
    .vgpr_spill_count: 0
    .wavefront_size: 64
  - .args:
      - .offset:         0
        .size:           4
        .value_kind:     by_value
      - .offset:         8
        .size:           8
        .value_kind:     by_value
      - .actual_access:  read_only
        .address_space:  global
        .offset:         16
        .size:           8
        .value_kind:     global_buffer
      - .actual_access:  read_only
        .address_space:  global
        .offset:         24
        .size:           8
        .value_kind:     global_buffer
      - .address_space:  global
        .offset:         32
        .size:           8
        .value_kind:     global_buffer
      - .offset:         40
        .size:           1
        .value_kind:     by_value
    .group_segment_fixed_size: 3072
    .kernarg_segment_align: 8
    .kernarg_segment_size: 44
    .language:       OpenCL C
    .language_version:
      - 2
      - 0
    .max_flat_workgroup_size: 256
    .name:           _ZN9rocsparseL29coomvn_segmented_loops_reduceILj256Ei21rocsparse_complex_numIfES2_EEvT0_NS_24const_host_device_scalarIT2_EEPKS3_PKS5_PT1_b
    .private_segment_fixed_size: 0
    .sgpr_count:     34
    .sgpr_spill_count: 0
    .symbol:         _ZN9rocsparseL29coomvn_segmented_loops_reduceILj256Ei21rocsparse_complex_numIfES2_EEvT0_NS_24const_host_device_scalarIT2_EEPKS3_PKS5_PT1_b.kd
    .uniform_work_group_size: 1
    .uses_dynamic_stack: false
    .vgpr_count:     24
    .vgpr_spill_count: 0
    .wavefront_size: 64
  - .args:
      - .offset:         0
        .size:           4
        .value_kind:     by_value
      - .offset:         8
        .size:           8
        .value_kind:     by_value
      - .offset:         16
        .size:           8
        .value_kind:     by_value
      - .actual_access:  read_only
        .address_space:  global
        .offset:         24
        .size:           8
        .value_kind:     global_buffer
      - .actual_access:  read_only
        .address_space:  global
        .offset:         32
        .size:           8
        .value_kind:     global_buffer
      - .actual_access:  read_only
        .address_space:  global
        .offset:         40
        .size:           8
        .value_kind:     global_buffer
      - .actual_access:  read_only
        .address_space:  global
        .offset:         48
        .size:           8
        .value_kind:     global_buffer
      - .address_space:  global
        .offset:         56
        .size:           8
        .value_kind:     global_buffer
      - .offset:         64
        .size:           4
        .value_kind:     by_value
      - .offset:         68
        .size:           1
        .value_kind:     by_value
      - .offset:         72
        .size:           4
        .value_kind:     hidden_block_count_x
      - .offset:         76
        .size:           4
        .value_kind:     hidden_block_count_y
      - .offset:         80
        .size:           4
        .value_kind:     hidden_block_count_z
      - .offset:         84
        .size:           2
        .value_kind:     hidden_group_size_x
      - .offset:         86
        .size:           2
        .value_kind:     hidden_group_size_y
      - .offset:         88
        .size:           2
        .value_kind:     hidden_group_size_z
      - .offset:         90
        .size:           2
        .value_kind:     hidden_remainder_x
      - .offset:         92
        .size:           2
        .value_kind:     hidden_remainder_y
      - .offset:         94
        .size:           2
        .value_kind:     hidden_remainder_z
      - .offset:         112
        .size:           8
        .value_kind:     hidden_global_offset_x
      - .offset:         120
        .size:           8
        .value_kind:     hidden_global_offset_y
      - .offset:         128
        .size:           8
        .value_kind:     hidden_global_offset_z
      - .offset:         136
        .size:           2
        .value_kind:     hidden_grid_dims
    .group_segment_fixed_size: 0
    .kernarg_segment_align: 8
    .kernarg_segment_size: 328
    .language:       OpenCL C
    .language_version:
      - 2
      - 0
    .max_flat_workgroup_size: 1024
    .name:           _ZN9rocsparseL13coomvt_kernelILj1024Ei21rocsparse_complex_numIfES2_S2_S2_EEv20rocsparse_operation_lNS_24const_host_device_scalarIT4_EEPKT0_S9_PKT1_PKT2_PT3_21rocsparse_index_base_b
    .private_segment_fixed_size: 0
    .sgpr_count:     20
    .sgpr_spill_count: 0
    .symbol:         _ZN9rocsparseL13coomvt_kernelILj1024Ei21rocsparse_complex_numIfES2_S2_S2_EEv20rocsparse_operation_lNS_24const_host_device_scalarIT4_EEPKT0_S9_PKT1_PKT2_PT3_21rocsparse_index_base_b.kd
    .uniform_work_group_size: 1
    .uses_dynamic_stack: false
    .vgpr_count:     13
    .vgpr_spill_count: 0
    .wavefront_size: 64
  - .args:
      - .offset:         0
        .size:           8
        .value_kind:     by_value
      - .offset:         8
        .size:           8
        .value_kind:     by_value
      - .actual_access:  read_only
        .address_space:  global
        .offset:         16
        .size:           8
        .value_kind:     global_buffer
      - .actual_access:  read_only
        .address_space:  global
        .offset:         24
        .size:           8
        .value_kind:     global_buffer
      - .actual_access:  read_only
        .address_space:  global
        .offset:         32
        .size:           8
        .value_kind:     global_buffer
      - .actual_access:  read_only
        .address_space:  global
        .offset:         40
        .size:           8
        .value_kind:     global_buffer
      - .address_space:  global
        .offset:         48
        .size:           8
        .value_kind:     global_buffer
      - .offset:         56
        .size:           4
        .value_kind:     by_value
      - .offset:         60
        .size:           1
        .value_kind:     by_value
    .group_segment_fixed_size: 3072
    .kernarg_segment_align: 8
    .kernarg_segment_size: 64
    .language:       OpenCL C
    .language_version:
      - 2
      - 0
    .max_flat_workgroup_size: 256
    .name:           _ZN9rocsparseL19coomvn_atomic_loopsILj256ELj1Ei21rocsparse_complex_numIfES2_S2_S2_EEvlNS_24const_host_device_scalarIT5_EEPKT1_S8_PKT2_PKT3_PT4_21rocsparse_index_base_b
    .private_segment_fixed_size: 0
    .sgpr_count:     20
    .sgpr_spill_count: 0
    .symbol:         _ZN9rocsparseL19coomvn_atomic_loopsILj256ELj1Ei21rocsparse_complex_numIfES2_S2_S2_EEvlNS_24const_host_device_scalarIT5_EEPKT1_S8_PKT2_PKT3_PT4_21rocsparse_index_base_b.kd
    .uniform_work_group_size: 1
    .uses_dynamic_stack: false
    .vgpr_count:     12
    .vgpr_spill_count: 0
    .wavefront_size: 64
  - .args:
      - .offset:         0
        .size:           8
        .value_kind:     by_value
      - .offset:         8
        .size:           8
        .value_kind:     by_value
      - .actual_access:  read_only
        .address_space:  global
        .offset:         16
        .size:           8
        .value_kind:     global_buffer
      - .actual_access:  read_only
        .address_space:  global
        .offset:         24
        .size:           8
        .value_kind:     global_buffer
      - .actual_access:  read_only
        .address_space:  global
        .offset:         32
        .size:           8
        .value_kind:     global_buffer
      - .actual_access:  read_only
        .address_space:  global
        .offset:         40
        .size:           8
        .value_kind:     global_buffer
      - .address_space:  global
        .offset:         48
        .size:           8
        .value_kind:     global_buffer
      - .offset:         56
        .size:           4
        .value_kind:     by_value
      - .offset:         60
        .size:           1
        .value_kind:     by_value
    .group_segment_fixed_size: 3072
    .kernarg_segment_align: 8
    .kernarg_segment_size: 64
    .language:       OpenCL C
    .language_version:
      - 2
      - 0
    .max_flat_workgroup_size: 256
    .name:           _ZN9rocsparseL19coomvn_atomic_loopsILj256ELj2Ei21rocsparse_complex_numIfES2_S2_S2_EEvlNS_24const_host_device_scalarIT5_EEPKT1_S8_PKT2_PKT3_PT4_21rocsparse_index_base_b
    .private_segment_fixed_size: 0
    .sgpr_count:     44
    .sgpr_spill_count: 0
    .symbol:         _ZN9rocsparseL19coomvn_atomic_loopsILj256ELj2Ei21rocsparse_complex_numIfES2_S2_S2_EEvlNS_24const_host_device_scalarIT5_EEPKT1_S8_PKT2_PKT3_PT4_21rocsparse_index_base_b.kd
    .uniform_work_group_size: 1
    .uses_dynamic_stack: false
    .vgpr_count:     22
    .vgpr_spill_count: 0
    .wavefront_size: 64
  - .args:
      - .offset:         0
        .size:           8
        .value_kind:     by_value
      - .offset:         8
        .size:           8
        .value_kind:     by_value
      - .offset:         16
        .size:           8
        .value_kind:     by_value
      - .actual_access:  read_only
        .address_space:  global
        .offset:         24
        .size:           8
        .value_kind:     global_buffer
      - .actual_access:  read_only
        .address_space:  global
        .offset:         32
        .size:           8
        .value_kind:     global_buffer
      - .actual_access:  read_only
        .address_space:  global
        .offset:         40
        .size:           8
        .value_kind:     global_buffer
      - .actual_access:  read_only
        .address_space:  global
        .offset:         48
        .size:           8
        .value_kind:     global_buffer
      - .address_space:  global
        .offset:         56
        .size:           8
        .value_kind:     global_buffer
      - .actual_access:  write_only
        .address_space:  global
        .offset:         64
        .size:           8
        .value_kind:     global_buffer
      - .actual_access:  write_only
        .address_space:  global
        .offset:         72
        .size:           8
        .value_kind:     global_buffer
      - .offset:         80
        .size:           4
        .value_kind:     by_value
      - .offset:         84
        .size:           1
        .value_kind:     by_value
    .group_segment_fixed_size: 4096
    .kernarg_segment_align: 8
    .kernarg_segment_size: 88
    .language:       OpenCL C
    .language_version:
      - 2
      - 0
    .max_flat_workgroup_size: 256
    .name:           _ZN9rocsparseL22coomvn_segmented_loopsILj256El21rocsparse_complex_numIfES2_S2_S2_EEvlT0_NS_24const_host_device_scalarIT4_EEPKS3_S8_PKT1_PKT2_PT3_PS3_PS5_21rocsparse_index_base_b
    .private_segment_fixed_size: 0
    .sgpr_count:     52
    .sgpr_spill_count: 0
    .symbol:         _ZN9rocsparseL22coomvn_segmented_loopsILj256El21rocsparse_complex_numIfES2_S2_S2_EEvlT0_NS_24const_host_device_scalarIT4_EEPKS3_S8_PKT1_PKT2_PT3_PS3_PS5_21rocsparse_index_base_b.kd
    .uniform_work_group_size: 1
    .uses_dynamic_stack: false
    .vgpr_count:     39
    .vgpr_spill_count: 0
    .wavefront_size: 64
  - .args:
      - .offset:         0
        .size:           8
        .value_kind:     by_value
      - .offset:         8
        .size:           8
        .value_kind:     by_value
      - .actual_access:  read_only
        .address_space:  global
        .offset:         16
        .size:           8
        .value_kind:     global_buffer
      - .actual_access:  read_only
        .address_space:  global
        .offset:         24
        .size:           8
        .value_kind:     global_buffer
      - .address_space:  global
        .offset:         32
        .size:           8
        .value_kind:     global_buffer
      - .offset:         40
        .size:           1
        .value_kind:     by_value
    .group_segment_fixed_size: 4096
    .kernarg_segment_align: 8
    .kernarg_segment_size: 44
    .language:       OpenCL C
    .language_version:
      - 2
      - 0
    .max_flat_workgroup_size: 256
    .name:           _ZN9rocsparseL29coomvn_segmented_loops_reduceILj256El21rocsparse_complex_numIfES2_EEvT0_NS_24const_host_device_scalarIT2_EEPKS3_PKS5_PT1_b
    .private_segment_fixed_size: 0
    .sgpr_count:     32
    .sgpr_spill_count: 0
    .symbol:         _ZN9rocsparseL29coomvn_segmented_loops_reduceILj256El21rocsparse_complex_numIfES2_EEvT0_NS_24const_host_device_scalarIT2_EEPKS3_PKS5_PT1_b.kd
    .uniform_work_group_size: 1
    .uses_dynamic_stack: false
    .vgpr_count:     29
    .vgpr_spill_count: 0
    .wavefront_size: 64
  - .args:
      - .offset:         0
        .size:           4
        .value_kind:     by_value
      - .offset:         8
        .size:           8
        .value_kind:     by_value
      - .offset:         16
        .size:           8
        .value_kind:     by_value
      - .actual_access:  read_only
        .address_space:  global
        .offset:         24
        .size:           8
        .value_kind:     global_buffer
      - .actual_access:  read_only
        .address_space:  global
        .offset:         32
        .size:           8
        .value_kind:     global_buffer
      - .actual_access:  read_only
        .address_space:  global
        .offset:         40
        .size:           8
        .value_kind:     global_buffer
      - .actual_access:  read_only
        .address_space:  global
        .offset:         48
        .size:           8
        .value_kind:     global_buffer
      - .address_space:  global
        .offset:         56
        .size:           8
        .value_kind:     global_buffer
      - .offset:         64
        .size:           4
        .value_kind:     by_value
      - .offset:         68
        .size:           1
        .value_kind:     by_value
      - .offset:         72
        .size:           4
        .value_kind:     hidden_block_count_x
      - .offset:         76
        .size:           4
        .value_kind:     hidden_block_count_y
      - .offset:         80
        .size:           4
        .value_kind:     hidden_block_count_z
      - .offset:         84
        .size:           2
        .value_kind:     hidden_group_size_x
      - .offset:         86
        .size:           2
        .value_kind:     hidden_group_size_y
      - .offset:         88
        .size:           2
        .value_kind:     hidden_group_size_z
      - .offset:         90
        .size:           2
        .value_kind:     hidden_remainder_x
      - .offset:         92
        .size:           2
        .value_kind:     hidden_remainder_y
      - .offset:         94
        .size:           2
        .value_kind:     hidden_remainder_z
      - .offset:         112
        .size:           8
        .value_kind:     hidden_global_offset_x
      - .offset:         120
        .size:           8
        .value_kind:     hidden_global_offset_y
      - .offset:         128
        .size:           8
        .value_kind:     hidden_global_offset_z
      - .offset:         136
        .size:           2
        .value_kind:     hidden_grid_dims
    .group_segment_fixed_size: 0
    .kernarg_segment_align: 8
    .kernarg_segment_size: 328
    .language:       OpenCL C
    .language_version:
      - 2
      - 0
    .max_flat_workgroup_size: 1024
    .name:           _ZN9rocsparseL13coomvt_kernelILj1024El21rocsparse_complex_numIfES2_S2_S2_EEv20rocsparse_operation_lNS_24const_host_device_scalarIT4_EEPKT0_S9_PKT1_PKT2_PT3_21rocsparse_index_base_b
    .private_segment_fixed_size: 0
    .sgpr_count:     20
    .sgpr_spill_count: 0
    .symbol:         _ZN9rocsparseL13coomvt_kernelILj1024El21rocsparse_complex_numIfES2_S2_S2_EEv20rocsparse_operation_lNS_24const_host_device_scalarIT4_EEPKT0_S9_PKT1_PKT2_PT3_21rocsparse_index_base_b.kd
    .uniform_work_group_size: 1
    .uses_dynamic_stack: false
    .vgpr_count:     13
    .vgpr_spill_count: 0
    .wavefront_size: 64
  - .args:
      - .offset:         0
        .size:           8
        .value_kind:     by_value
      - .offset:         8
        .size:           8
        .value_kind:     by_value
      - .actual_access:  read_only
        .address_space:  global
        .offset:         16
        .size:           8
        .value_kind:     global_buffer
      - .actual_access:  read_only
        .address_space:  global
        .offset:         24
        .size:           8
        .value_kind:     global_buffer
      - .actual_access:  read_only
        .address_space:  global
        .offset:         32
        .size:           8
        .value_kind:     global_buffer
      - .actual_access:  read_only
        .address_space:  global
        .offset:         40
        .size:           8
        .value_kind:     global_buffer
      - .address_space:  global
        .offset:         48
        .size:           8
        .value_kind:     global_buffer
      - .offset:         56
        .size:           4
        .value_kind:     by_value
      - .offset:         60
        .size:           1
        .value_kind:     by_value
    .group_segment_fixed_size: 4096
    .kernarg_segment_align: 8
    .kernarg_segment_size: 64
    .language:       OpenCL C
    .language_version:
      - 2
      - 0
    .max_flat_workgroup_size: 256
    .name:           _ZN9rocsparseL19coomvn_atomic_loopsILj256ELj1El21rocsparse_complex_numIfES2_S2_S2_EEvlNS_24const_host_device_scalarIT5_EEPKT1_S8_PKT2_PKT3_PT4_21rocsparse_index_base_b
    .private_segment_fixed_size: 0
    .sgpr_count:     20
    .sgpr_spill_count: 0
    .symbol:         _ZN9rocsparseL19coomvn_atomic_loopsILj256ELj1El21rocsparse_complex_numIfES2_S2_S2_EEvlNS_24const_host_device_scalarIT5_EEPKT1_S8_PKT2_PKT3_PT4_21rocsparse_index_base_b.kd
    .uniform_work_group_size: 1
    .uses_dynamic_stack: false
    .vgpr_count:     14
    .vgpr_spill_count: 0
    .wavefront_size: 64
  - .args:
      - .offset:         0
        .size:           8
        .value_kind:     by_value
      - .offset:         8
        .size:           8
        .value_kind:     by_value
      - .actual_access:  read_only
        .address_space:  global
        .offset:         16
        .size:           8
        .value_kind:     global_buffer
      - .actual_access:  read_only
        .address_space:  global
        .offset:         24
        .size:           8
        .value_kind:     global_buffer
      - .actual_access:  read_only
        .address_space:  global
        .offset:         32
        .size:           8
        .value_kind:     global_buffer
      - .actual_access:  read_only
        .address_space:  global
        .offset:         40
        .size:           8
        .value_kind:     global_buffer
      - .address_space:  global
        .offset:         48
        .size:           8
        .value_kind:     global_buffer
      - .offset:         56
        .size:           4
        .value_kind:     by_value
      - .offset:         60
        .size:           1
        .value_kind:     by_value
    .group_segment_fixed_size: 4096
    .kernarg_segment_align: 8
    .kernarg_segment_size: 64
    .language:       OpenCL C
    .language_version:
      - 2
      - 0
    .max_flat_workgroup_size: 256
    .name:           _ZN9rocsparseL19coomvn_atomic_loopsILj256ELj2El21rocsparse_complex_numIfES2_S2_S2_EEvlNS_24const_host_device_scalarIT5_EEPKT1_S8_PKT2_PKT3_PT4_21rocsparse_index_base_b
    .private_segment_fixed_size: 0
    .sgpr_count:     44
    .sgpr_spill_count: 0
    .symbol:         _ZN9rocsparseL19coomvn_atomic_loopsILj256ELj2El21rocsparse_complex_numIfES2_S2_S2_EEvlNS_24const_host_device_scalarIT5_EEPKT1_S8_PKT2_PKT3_PT4_21rocsparse_index_base_b.kd
    .uniform_work_group_size: 1
    .uses_dynamic_stack: false
    .vgpr_count:     20
    .vgpr_spill_count: 0
    .wavefront_size: 64
  - .args:
      - .offset:         0
        .size:           8
        .value_kind:     by_value
      - .offset:         8
        .size:           4
        .value_kind:     by_value
      - .offset:         16
        .size:           16
        .value_kind:     by_value
      - .actual_access:  read_only
        .address_space:  global
        .offset:         32
        .size:           8
        .value_kind:     global_buffer
      - .actual_access:  read_only
        .address_space:  global
        .offset:         40
        .size:           8
        .value_kind:     global_buffer
      - .actual_access:  read_only
        .address_space:  global
        .offset:         48
        .size:           8
        .value_kind:     global_buffer
      - .actual_access:  read_only
        .address_space:  global
        .offset:         56
        .size:           8
        .value_kind:     global_buffer
      - .address_space:  global
        .offset:         64
        .size:           8
        .value_kind:     global_buffer
      - .actual_access:  write_only
        .address_space:  global
        .offset:         72
        .size:           8
        .value_kind:     global_buffer
      - .actual_access:  write_only
        .address_space:  global
        .offset:         80
        .size:           8
        .value_kind:     global_buffer
      - .offset:         88
        .size:           4
        .value_kind:     by_value
      - .offset:         92
        .size:           1
        .value_kind:     by_value
    .group_segment_fixed_size: 5120
    .kernarg_segment_align: 8
    .kernarg_segment_size: 96
    .language:       OpenCL C
    .language_version:
      - 2
      - 0
    .max_flat_workgroup_size: 256
    .name:           _ZN9rocsparseL22coomvn_segmented_loopsILj256Ei21rocsparse_complex_numIdES2_S2_S2_EEvlT0_NS_24const_host_device_scalarIT4_EEPKS3_S8_PKT1_PKT2_PT3_PS3_PS5_21rocsparse_index_base_b
    .private_segment_fixed_size: 0
    .sgpr_count:     48
    .sgpr_spill_count: 0
    .symbol:         _ZN9rocsparseL22coomvn_segmented_loopsILj256Ei21rocsparse_complex_numIdES2_S2_S2_EEvlT0_NS_24const_host_device_scalarIT4_EEPKS3_S8_PKT1_PKT2_PT3_PS3_PS5_21rocsparse_index_base_b.kd
    .uniform_work_group_size: 1
    .uses_dynamic_stack: false
    .vgpr_count:     38
    .vgpr_spill_count: 0
    .wavefront_size: 64
  - .args:
      - .offset:         0
        .size:           4
        .value_kind:     by_value
      - .offset:         8
        .size:           16
        .value_kind:     by_value
      - .actual_access:  read_only
        .address_space:  global
        .offset:         24
        .size:           8
        .value_kind:     global_buffer
      - .actual_access:  read_only
        .address_space:  global
        .offset:         32
        .size:           8
        .value_kind:     global_buffer
      - .address_space:  global
        .offset:         40
        .size:           8
        .value_kind:     global_buffer
      - .offset:         48
        .size:           1
        .value_kind:     by_value
    .group_segment_fixed_size: 5120
    .kernarg_segment_align: 8
    .kernarg_segment_size: 52
    .language:       OpenCL C
    .language_version:
      - 2
      - 0
    .max_flat_workgroup_size: 256
    .name:           _ZN9rocsparseL29coomvn_segmented_loops_reduceILj256Ei21rocsparse_complex_numIdES2_EEvT0_NS_24const_host_device_scalarIT2_EEPKS3_PKS5_PT1_b
    .private_segment_fixed_size: 0
    .sgpr_count:     34
    .sgpr_spill_count: 0
    .symbol:         _ZN9rocsparseL29coomvn_segmented_loops_reduceILj256Ei21rocsparse_complex_numIdES2_EEvT0_NS_24const_host_device_scalarIT2_EEPKS3_PKS5_PT1_b.kd
    .uniform_work_group_size: 1
    .uses_dynamic_stack: false
    .vgpr_count:     28
    .vgpr_spill_count: 0
    .wavefront_size: 64
  - .args:
      - .offset:         0
        .size:           4
        .value_kind:     by_value
      - .offset:         8
        .size:           8
        .value_kind:     by_value
      - .offset:         16
        .size:           16
        .value_kind:     by_value
      - .actual_access:  read_only
        .address_space:  global
        .offset:         32
        .size:           8
        .value_kind:     global_buffer
      - .actual_access:  read_only
        .address_space:  global
        .offset:         40
        .size:           8
        .value_kind:     global_buffer
      - .actual_access:  read_only
        .address_space:  global
        .offset:         48
        .size:           8
        .value_kind:     global_buffer
      - .actual_access:  read_only
        .address_space:  global
        .offset:         56
        .size:           8
        .value_kind:     global_buffer
      - .address_space:  global
        .offset:         64
        .size:           8
        .value_kind:     global_buffer
      - .offset:         72
        .size:           4
        .value_kind:     by_value
      - .offset:         76
        .size:           1
        .value_kind:     by_value
      - .offset:         80
        .size:           4
        .value_kind:     hidden_block_count_x
      - .offset:         84
        .size:           4
        .value_kind:     hidden_block_count_y
      - .offset:         88
        .size:           4
        .value_kind:     hidden_block_count_z
      - .offset:         92
        .size:           2
        .value_kind:     hidden_group_size_x
      - .offset:         94
        .size:           2
        .value_kind:     hidden_group_size_y
      - .offset:         96
        .size:           2
        .value_kind:     hidden_group_size_z
      - .offset:         98
        .size:           2
        .value_kind:     hidden_remainder_x
      - .offset:         100
        .size:           2
        .value_kind:     hidden_remainder_y
      - .offset:         102
        .size:           2
        .value_kind:     hidden_remainder_z
      - .offset:         120
        .size:           8
        .value_kind:     hidden_global_offset_x
      - .offset:         128
        .size:           8
        .value_kind:     hidden_global_offset_y
      - .offset:         136
        .size:           8
        .value_kind:     hidden_global_offset_z
      - .offset:         144
        .size:           2
        .value_kind:     hidden_grid_dims
    .group_segment_fixed_size: 0
    .kernarg_segment_align: 8
    .kernarg_segment_size: 336
    .language:       OpenCL C
    .language_version:
      - 2
      - 0
    .max_flat_workgroup_size: 1024
    .name:           _ZN9rocsparseL13coomvt_kernelILj1024Ei21rocsparse_complex_numIdES2_S2_S2_EEv20rocsparse_operation_lNS_24const_host_device_scalarIT4_EEPKT0_S9_PKT1_PKT2_PT3_21rocsparse_index_base_b
    .private_segment_fixed_size: 0
    .sgpr_count:     20
    .sgpr_spill_count: 0
    .symbol:         _ZN9rocsparseL13coomvt_kernelILj1024Ei21rocsparse_complex_numIdES2_S2_S2_EEv20rocsparse_operation_lNS_24const_host_device_scalarIT4_EEPKT0_S9_PKT1_PKT2_PT3_21rocsparse_index_base_b.kd
    .uniform_work_group_size: 1
    .uses_dynamic_stack: false
    .vgpr_count:     17
    .vgpr_spill_count: 0
    .wavefront_size: 64
  - .args:
      - .offset:         0
        .size:           8
        .value_kind:     by_value
      - .offset:         8
        .size:           16
        .value_kind:     by_value
      - .actual_access:  read_only
        .address_space:  global
        .offset:         24
        .size:           8
        .value_kind:     global_buffer
      - .actual_access:  read_only
        .address_space:  global
        .offset:         32
        .size:           8
        .value_kind:     global_buffer
      - .actual_access:  read_only
        .address_space:  global
        .offset:         40
        .size:           8
        .value_kind:     global_buffer
      - .actual_access:  read_only
        .address_space:  global
        .offset:         48
        .size:           8
        .value_kind:     global_buffer
      - .address_space:  global
        .offset:         56
        .size:           8
        .value_kind:     global_buffer
      - .offset:         64
        .size:           4
        .value_kind:     by_value
      - .offset:         68
        .size:           1
        .value_kind:     by_value
    .group_segment_fixed_size: 5120
    .kernarg_segment_align: 8
    .kernarg_segment_size: 72
    .language:       OpenCL C
    .language_version:
      - 2
      - 0
    .max_flat_workgroup_size: 256
    .name:           _ZN9rocsparseL19coomvn_atomic_loopsILj256ELj1Ei21rocsparse_complex_numIdES2_S2_S2_EEvlNS_24const_host_device_scalarIT5_EEPKT1_S8_PKT2_PKT3_PT4_21rocsparse_index_base_b
    .private_segment_fixed_size: 0
    .sgpr_count:     20
    .sgpr_spill_count: 0
    .symbol:         _ZN9rocsparseL19coomvn_atomic_loopsILj256ELj1Ei21rocsparse_complex_numIdES2_S2_S2_EEvlNS_24const_host_device_scalarIT5_EEPKT1_S8_PKT2_PKT3_PT4_21rocsparse_index_base_b.kd
    .uniform_work_group_size: 1
    .uses_dynamic_stack: false
    .vgpr_count:     18
    .vgpr_spill_count: 0
    .wavefront_size: 64
  - .args:
      - .offset:         0
        .size:           8
        .value_kind:     by_value
      - .offset:         8
        .size:           16
        .value_kind:     by_value
      - .actual_access:  read_only
        .address_space:  global
        .offset:         24
        .size:           8
        .value_kind:     global_buffer
      - .actual_access:  read_only
        .address_space:  global
        .offset:         32
        .size:           8
        .value_kind:     global_buffer
      - .actual_access:  read_only
        .address_space:  global
        .offset:         40
        .size:           8
        .value_kind:     global_buffer
      - .actual_access:  read_only
        .address_space:  global
        .offset:         48
        .size:           8
        .value_kind:     global_buffer
      - .address_space:  global
        .offset:         56
        .size:           8
        .value_kind:     global_buffer
      - .offset:         64
        .size:           4
        .value_kind:     by_value
      - .offset:         68
        .size:           1
        .value_kind:     by_value
    .group_segment_fixed_size: 5120
    .kernarg_segment_align: 8
    .kernarg_segment_size: 72
    .language:       OpenCL C
    .language_version:
      - 2
      - 0
    .max_flat_workgroup_size: 256
    .name:           _ZN9rocsparseL19coomvn_atomic_loopsILj256ELj2Ei21rocsparse_complex_numIdES2_S2_S2_EEvlNS_24const_host_device_scalarIT5_EEPKT1_S8_PKT2_PKT3_PT4_21rocsparse_index_base_b
    .private_segment_fixed_size: 0
    .sgpr_count:     44
    .sgpr_spill_count: 0
    .symbol:         _ZN9rocsparseL19coomvn_atomic_loopsILj256ELj2Ei21rocsparse_complex_numIdES2_S2_S2_EEvlNS_24const_host_device_scalarIT5_EEPKT1_S8_PKT2_PKT3_PT4_21rocsparse_index_base_b.kd
    .uniform_work_group_size: 1
    .uses_dynamic_stack: false
    .vgpr_count:     28
    .vgpr_spill_count: 0
    .wavefront_size: 64
  - .args:
      - .offset:         0
        .size:           8
        .value_kind:     by_value
      - .offset:         8
        .size:           8
        .value_kind:     by_value
      - .offset:         16
        .size:           16
        .value_kind:     by_value
      - .actual_access:  read_only
        .address_space:  global
        .offset:         32
        .size:           8
        .value_kind:     global_buffer
      - .actual_access:  read_only
        .address_space:  global
        .offset:         40
        .size:           8
        .value_kind:     global_buffer
      - .actual_access:  read_only
        .address_space:  global
        .offset:         48
        .size:           8
        .value_kind:     global_buffer
      - .actual_access:  read_only
        .address_space:  global
        .offset:         56
        .size:           8
        .value_kind:     global_buffer
      - .address_space:  global
        .offset:         64
        .size:           8
        .value_kind:     global_buffer
      - .actual_access:  write_only
        .address_space:  global
        .offset:         72
        .size:           8
        .value_kind:     global_buffer
      - .actual_access:  write_only
        .address_space:  global
        .offset:         80
        .size:           8
        .value_kind:     global_buffer
      - .offset:         88
        .size:           4
        .value_kind:     by_value
      - .offset:         92
        .size:           1
        .value_kind:     by_value
    .group_segment_fixed_size: 6144
    .kernarg_segment_align: 8
    .kernarg_segment_size: 96
    .language:       OpenCL C
    .language_version:
      - 2
      - 0
    .max_flat_workgroup_size: 256
    .name:           _ZN9rocsparseL22coomvn_segmented_loopsILj256El21rocsparse_complex_numIdES2_S2_S2_EEvlT0_NS_24const_host_device_scalarIT4_EEPKS3_S8_PKT1_PKT2_PT3_PS3_PS5_21rocsparse_index_base_b
    .private_segment_fixed_size: 0
    .sgpr_count:     52
    .sgpr_spill_count: 0
    .symbol:         _ZN9rocsparseL22coomvn_segmented_loopsILj256El21rocsparse_complex_numIdES2_S2_S2_EEvlT0_NS_24const_host_device_scalarIT4_EEPKS3_S8_PKT1_PKT2_PT3_PS3_PS5_21rocsparse_index_base_b.kd
    .uniform_work_group_size: 1
    .uses_dynamic_stack: false
    .vgpr_count:     46
    .vgpr_spill_count: 0
    .wavefront_size: 64
  - .args:
      - .offset:         0
        .size:           8
        .value_kind:     by_value
      - .offset:         8
        .size:           16
        .value_kind:     by_value
      - .actual_access:  read_only
        .address_space:  global
        .offset:         24
        .size:           8
        .value_kind:     global_buffer
      - .actual_access:  read_only
        .address_space:  global
        .offset:         32
        .size:           8
        .value_kind:     global_buffer
      - .address_space:  global
        .offset:         40
        .size:           8
        .value_kind:     global_buffer
      - .offset:         48
        .size:           1
        .value_kind:     by_value
    .group_segment_fixed_size: 6144
    .kernarg_segment_align: 8
    .kernarg_segment_size: 52
    .language:       OpenCL C
    .language_version:
      - 2
      - 0
    .max_flat_workgroup_size: 256
    .name:           _ZN9rocsparseL29coomvn_segmented_loops_reduceILj256El21rocsparse_complex_numIdES2_EEvT0_NS_24const_host_device_scalarIT2_EEPKS3_PKS5_PT1_b
    .private_segment_fixed_size: 0
    .sgpr_count:     32
    .sgpr_spill_count: 0
    .symbol:         _ZN9rocsparseL29coomvn_segmented_loops_reduceILj256El21rocsparse_complex_numIdES2_EEvT0_NS_24const_host_device_scalarIT2_EEPKS3_PKS5_PT1_b.kd
    .uniform_work_group_size: 1
    .uses_dynamic_stack: false
    .vgpr_count:     32
    .vgpr_spill_count: 0
    .wavefront_size: 64
  - .args:
      - .offset:         0
        .size:           4
        .value_kind:     by_value
      - .offset:         8
        .size:           8
        .value_kind:     by_value
      - .offset:         16
        .size:           16
        .value_kind:     by_value
      - .actual_access:  read_only
        .address_space:  global
        .offset:         32
        .size:           8
        .value_kind:     global_buffer
      - .actual_access:  read_only
        .address_space:  global
        .offset:         40
        .size:           8
        .value_kind:     global_buffer
      - .actual_access:  read_only
        .address_space:  global
        .offset:         48
        .size:           8
        .value_kind:     global_buffer
      - .actual_access:  read_only
        .address_space:  global
        .offset:         56
        .size:           8
        .value_kind:     global_buffer
      - .address_space:  global
        .offset:         64
        .size:           8
        .value_kind:     global_buffer
      - .offset:         72
        .size:           4
        .value_kind:     by_value
      - .offset:         76
        .size:           1
        .value_kind:     by_value
      - .offset:         80
        .size:           4
        .value_kind:     hidden_block_count_x
      - .offset:         84
        .size:           4
        .value_kind:     hidden_block_count_y
      - .offset:         88
        .size:           4
        .value_kind:     hidden_block_count_z
      - .offset:         92
        .size:           2
        .value_kind:     hidden_group_size_x
      - .offset:         94
        .size:           2
        .value_kind:     hidden_group_size_y
      - .offset:         96
        .size:           2
        .value_kind:     hidden_group_size_z
      - .offset:         98
        .size:           2
        .value_kind:     hidden_remainder_x
      - .offset:         100
        .size:           2
        .value_kind:     hidden_remainder_y
      - .offset:         102
        .size:           2
        .value_kind:     hidden_remainder_z
      - .offset:         120
        .size:           8
        .value_kind:     hidden_global_offset_x
      - .offset:         128
        .size:           8
        .value_kind:     hidden_global_offset_y
      - .offset:         136
        .size:           8
        .value_kind:     hidden_global_offset_z
      - .offset:         144
        .size:           2
        .value_kind:     hidden_grid_dims
    .group_segment_fixed_size: 0
    .kernarg_segment_align: 8
    .kernarg_segment_size: 336
    .language:       OpenCL C
    .language_version:
      - 2
      - 0
    .max_flat_workgroup_size: 1024
    .name:           _ZN9rocsparseL13coomvt_kernelILj1024El21rocsparse_complex_numIdES2_S2_S2_EEv20rocsparse_operation_lNS_24const_host_device_scalarIT4_EEPKT0_S9_PKT1_PKT2_PT3_21rocsparse_index_base_b
    .private_segment_fixed_size: 0
    .sgpr_count:     20
    .sgpr_spill_count: 0
    .symbol:         _ZN9rocsparseL13coomvt_kernelILj1024El21rocsparse_complex_numIdES2_S2_S2_EEv20rocsparse_operation_lNS_24const_host_device_scalarIT4_EEPKT0_S9_PKT1_PKT2_PT3_21rocsparse_index_base_b.kd
    .uniform_work_group_size: 1
    .uses_dynamic_stack: false
    .vgpr_count:     17
    .vgpr_spill_count: 0
    .wavefront_size: 64
  - .args:
      - .offset:         0
        .size:           8
        .value_kind:     by_value
      - .offset:         8
        .size:           16
        .value_kind:     by_value
      - .actual_access:  read_only
        .address_space:  global
        .offset:         24
        .size:           8
        .value_kind:     global_buffer
      - .actual_access:  read_only
        .address_space:  global
        .offset:         32
        .size:           8
        .value_kind:     global_buffer
      - .actual_access:  read_only
        .address_space:  global
        .offset:         40
        .size:           8
        .value_kind:     global_buffer
      - .actual_access:  read_only
        .address_space:  global
        .offset:         48
        .size:           8
        .value_kind:     global_buffer
      - .address_space:  global
        .offset:         56
        .size:           8
        .value_kind:     global_buffer
      - .offset:         64
        .size:           4
        .value_kind:     by_value
      - .offset:         68
        .size:           1
        .value_kind:     by_value
    .group_segment_fixed_size: 6144
    .kernarg_segment_align: 8
    .kernarg_segment_size: 72
    .language:       OpenCL C
    .language_version:
      - 2
      - 0
    .max_flat_workgroup_size: 256
    .name:           _ZN9rocsparseL19coomvn_atomic_loopsILj256ELj1El21rocsparse_complex_numIdES2_S2_S2_EEvlNS_24const_host_device_scalarIT5_EEPKT1_S8_PKT2_PKT3_PT4_21rocsparse_index_base_b
    .private_segment_fixed_size: 0
    .sgpr_count:     20
    .sgpr_spill_count: 0
    .symbol:         _ZN9rocsparseL19coomvn_atomic_loopsILj256ELj1El21rocsparse_complex_numIdES2_S2_S2_EEvlNS_24const_host_device_scalarIT5_EEPKT1_S8_PKT2_PKT3_PT4_21rocsparse_index_base_b.kd
    .uniform_work_group_size: 1
    .uses_dynamic_stack: false
    .vgpr_count:     19
    .vgpr_spill_count: 0
    .wavefront_size: 64
  - .args:
      - .offset:         0
        .size:           8
        .value_kind:     by_value
      - .offset:         8
        .size:           16
        .value_kind:     by_value
      - .actual_access:  read_only
        .address_space:  global
        .offset:         24
        .size:           8
        .value_kind:     global_buffer
      - .actual_access:  read_only
        .address_space:  global
        .offset:         32
        .size:           8
        .value_kind:     global_buffer
      - .actual_access:  read_only
        .address_space:  global
        .offset:         40
        .size:           8
        .value_kind:     global_buffer
      - .actual_access:  read_only
        .address_space:  global
        .offset:         48
        .size:           8
        .value_kind:     global_buffer
      - .address_space:  global
        .offset:         56
        .size:           8
        .value_kind:     global_buffer
      - .offset:         64
        .size:           4
        .value_kind:     by_value
      - .offset:         68
        .size:           1
        .value_kind:     by_value
    .group_segment_fixed_size: 6144
    .kernarg_segment_align: 8
    .kernarg_segment_size: 72
    .language:       OpenCL C
    .language_version:
      - 2
      - 0
    .max_flat_workgroup_size: 256
    .name:           _ZN9rocsparseL19coomvn_atomic_loopsILj256ELj2El21rocsparse_complex_numIdES2_S2_S2_EEvlNS_24const_host_device_scalarIT5_EEPKT1_S8_PKT2_PKT3_PT4_21rocsparse_index_base_b
    .private_segment_fixed_size: 0
    .sgpr_count:     44
    .sgpr_spill_count: 0
    .symbol:         _ZN9rocsparseL19coomvn_atomic_loopsILj256ELj2El21rocsparse_complex_numIdES2_S2_S2_EEvlNS_24const_host_device_scalarIT5_EEPKT1_S8_PKT2_PKT3_PT4_21rocsparse_index_base_b.kd
    .uniform_work_group_size: 1
    .uses_dynamic_stack: false
    .vgpr_count:     29
    .vgpr_spill_count: 0
    .wavefront_size: 64
  - .args:
      - .offset:         0
        .size:           8
        .value_kind:     by_value
      - .offset:         8
        .size:           4
        .value_kind:     by_value
      - .offset:         16
        .size:           8
        .value_kind:     by_value
      - .actual_access:  read_only
        .address_space:  global
        .offset:         24
        .size:           8
        .value_kind:     global_buffer
      - .actual_access:  read_only
        .address_space:  global
        .offset:         32
        .size:           8
        .value_kind:     global_buffer
      - .actual_access:  read_only
        .address_space:  global
        .offset:         40
        .size:           8
        .value_kind:     global_buffer
      - .actual_access:  read_only
        .address_space:  global
        .offset:         48
        .size:           8
        .value_kind:     global_buffer
      - .address_space:  global
        .offset:         56
        .size:           8
        .value_kind:     global_buffer
      - .actual_access:  write_only
        .address_space:  global
        .offset:         64
        .size:           8
        .value_kind:     global_buffer
      - .actual_access:  write_only
        .address_space:  global
        .offset:         72
        .size:           8
        .value_kind:     global_buffer
      - .offset:         80
        .size:           4
        .value_kind:     by_value
      - .offset:         84
        .size:           1
        .value_kind:     by_value
    .group_segment_fixed_size: 2048
    .kernarg_segment_align: 8
    .kernarg_segment_size: 88
    .language:       OpenCL C
    .language_version:
      - 2
      - 0
    .max_flat_workgroup_size: 256
    .name:           _ZN9rocsparseL22coomvn_segmented_loopsILj256EiaaiiEEvlT0_NS_24const_host_device_scalarIT4_EEPKS1_S6_PKT1_PKT2_PT3_PS1_PS3_21rocsparse_index_base_b
    .private_segment_fixed_size: 0
    .sgpr_count:     50
    .sgpr_spill_count: 0
    .symbol:         _ZN9rocsparseL22coomvn_segmented_loopsILj256EiaaiiEEvlT0_NS_24const_host_device_scalarIT4_EEPKS1_S6_PKT1_PKT2_PT3_PS1_PS3_21rocsparse_index_base_b.kd
    .uniform_work_group_size: 1
    .uses_dynamic_stack: false
    .vgpr_count:     32
    .vgpr_spill_count: 0
    .wavefront_size: 64
  - .args:
      - .offset:         0
        .size:           4
        .value_kind:     by_value
      - .offset:         8
        .size:           8
        .value_kind:     by_value
      - .actual_access:  read_only
        .address_space:  global
        .offset:         16
        .size:           8
        .value_kind:     global_buffer
      - .actual_access:  read_only
        .address_space:  global
        .offset:         24
        .size:           8
        .value_kind:     global_buffer
      - .address_space:  global
        .offset:         32
        .size:           8
        .value_kind:     global_buffer
      - .offset:         40
        .size:           1
        .value_kind:     by_value
    .group_segment_fixed_size: 2048
    .kernarg_segment_align: 8
    .kernarg_segment_size: 44
    .language:       OpenCL C
    .language_version:
      - 2
      - 0
    .max_flat_workgroup_size: 256
    .name:           _ZN9rocsparseL29coomvn_segmented_loops_reduceILj256EiiiEEvT0_NS_24const_host_device_scalarIT2_EEPKS1_PKS3_PT1_b
    .private_segment_fixed_size: 0
    .sgpr_count:     34
    .sgpr_spill_count: 0
    .symbol:         _ZN9rocsparseL29coomvn_segmented_loops_reduceILj256EiiiEEvT0_NS_24const_host_device_scalarIT2_EEPKS1_PKS3_PT1_b.kd
    .uniform_work_group_size: 1
    .uses_dynamic_stack: false
    .vgpr_count:     25
    .vgpr_spill_count: 0
    .wavefront_size: 64
  - .args:
      - .offset:         0
        .size:           4
        .value_kind:     by_value
      - .offset:         8
        .size:           8
        .value_kind:     by_value
      - .offset:         16
        .size:           8
        .value_kind:     by_value
      - .actual_access:  read_only
        .address_space:  global
        .offset:         24
        .size:           8
        .value_kind:     global_buffer
      - .actual_access:  read_only
        .address_space:  global
        .offset:         32
        .size:           8
        .value_kind:     global_buffer
      - .actual_access:  read_only
        .address_space:  global
        .offset:         40
        .size:           8
        .value_kind:     global_buffer
      - .actual_access:  read_only
        .address_space:  global
        .offset:         48
        .size:           8
        .value_kind:     global_buffer
      - .address_space:  global
        .offset:         56
        .size:           8
        .value_kind:     global_buffer
      - .offset:         64
        .size:           4
        .value_kind:     by_value
      - .offset:         68
        .size:           1
        .value_kind:     by_value
      - .offset:         72
        .size:           4
        .value_kind:     hidden_block_count_x
      - .offset:         76
        .size:           4
        .value_kind:     hidden_block_count_y
      - .offset:         80
        .size:           4
        .value_kind:     hidden_block_count_z
      - .offset:         84
        .size:           2
        .value_kind:     hidden_group_size_x
      - .offset:         86
        .size:           2
        .value_kind:     hidden_group_size_y
      - .offset:         88
        .size:           2
        .value_kind:     hidden_group_size_z
      - .offset:         90
        .size:           2
        .value_kind:     hidden_remainder_x
      - .offset:         92
        .size:           2
        .value_kind:     hidden_remainder_y
      - .offset:         94
        .size:           2
        .value_kind:     hidden_remainder_z
      - .offset:         112
        .size:           8
        .value_kind:     hidden_global_offset_x
      - .offset:         120
        .size:           8
        .value_kind:     hidden_global_offset_y
      - .offset:         128
        .size:           8
        .value_kind:     hidden_global_offset_z
      - .offset:         136
        .size:           2
        .value_kind:     hidden_grid_dims
    .group_segment_fixed_size: 0
    .kernarg_segment_align: 8
    .kernarg_segment_size: 328
    .language:       OpenCL C
    .language_version:
      - 2
      - 0
    .max_flat_workgroup_size: 1024
    .name:           _ZN9rocsparseL13coomvt_kernelILj1024EiaaiiEEv20rocsparse_operation_lNS_24const_host_device_scalarIT4_EEPKT0_S7_PKT1_PKT2_PT3_21rocsparse_index_base_b
    .private_segment_fixed_size: 0
    .sgpr_count:     22
    .sgpr_spill_count: 0
    .symbol:         _ZN9rocsparseL13coomvt_kernelILj1024EiaaiiEEv20rocsparse_operation_lNS_24const_host_device_scalarIT4_EEPKT0_S7_PKT1_PKT2_PT3_21rocsparse_index_base_b.kd
    .uniform_work_group_size: 1
    .uses_dynamic_stack: false
    .vgpr_count:     9
    .vgpr_spill_count: 0
    .wavefront_size: 64
  - .args:
      - .offset:         0
        .size:           8
        .value_kind:     by_value
      - .offset:         8
        .size:           8
        .value_kind:     by_value
      - .actual_access:  read_only
        .address_space:  global
        .offset:         16
        .size:           8
        .value_kind:     global_buffer
      - .actual_access:  read_only
        .address_space:  global
        .offset:         24
        .size:           8
        .value_kind:     global_buffer
      - .actual_access:  read_only
        .address_space:  global
        .offset:         32
        .size:           8
        .value_kind:     global_buffer
      - .actual_access:  read_only
        .address_space:  global
        .offset:         40
        .size:           8
        .value_kind:     global_buffer
      - .address_space:  global
        .offset:         48
        .size:           8
        .value_kind:     global_buffer
      - .offset:         56
        .size:           4
        .value_kind:     by_value
      - .offset:         60
        .size:           1
        .value_kind:     by_value
    .group_segment_fixed_size: 2048
    .kernarg_segment_align: 8
    .kernarg_segment_size: 64
    .language:       OpenCL C
    .language_version:
      - 2
      - 0
    .max_flat_workgroup_size: 256
    .name:           _ZN9rocsparseL19coomvn_atomic_loopsILj256ELj1EiaaiiEEvlNS_24const_host_device_scalarIT5_EEPKT1_S6_PKT2_PKT3_PT4_21rocsparse_index_base_b
    .private_segment_fixed_size: 0
    .sgpr_count:     22
    .sgpr_spill_count: 0
    .symbol:         _ZN9rocsparseL19coomvn_atomic_loopsILj256ELj1EiaaiiEEvlNS_24const_host_device_scalarIT5_EEPKT1_S6_PKT2_PKT3_PT4_21rocsparse_index_base_b.kd
    .uniform_work_group_size: 1
    .uses_dynamic_stack: false
    .vgpr_count:     10
    .vgpr_spill_count: 0
    .wavefront_size: 64
  - .args:
      - .offset:         0
        .size:           8
        .value_kind:     by_value
      - .offset:         8
        .size:           8
        .value_kind:     by_value
      - .actual_access:  read_only
        .address_space:  global
        .offset:         16
        .size:           8
        .value_kind:     global_buffer
      - .actual_access:  read_only
        .address_space:  global
        .offset:         24
        .size:           8
        .value_kind:     global_buffer
      - .actual_access:  read_only
        .address_space:  global
        .offset:         32
        .size:           8
        .value_kind:     global_buffer
      - .actual_access:  read_only
        .address_space:  global
        .offset:         40
        .size:           8
        .value_kind:     global_buffer
      - .address_space:  global
        .offset:         48
        .size:           8
        .value_kind:     global_buffer
      - .offset:         56
        .size:           4
        .value_kind:     by_value
      - .offset:         60
        .size:           1
        .value_kind:     by_value
    .group_segment_fixed_size: 2048
    .kernarg_segment_align: 8
    .kernarg_segment_size: 64
    .language:       OpenCL C
    .language_version:
      - 2
      - 0
    .max_flat_workgroup_size: 256
    .name:           _ZN9rocsparseL19coomvn_atomic_loopsILj256ELj2EiaaiiEEvlNS_24const_host_device_scalarIT5_EEPKT1_S6_PKT2_PKT3_PT4_21rocsparse_index_base_b
    .private_segment_fixed_size: 0
    .sgpr_count:     44
    .sgpr_spill_count: 0
    .symbol:         _ZN9rocsparseL19coomvn_atomic_loopsILj256ELj2EiaaiiEEvlNS_24const_host_device_scalarIT5_EEPKT1_S6_PKT2_PKT3_PT4_21rocsparse_index_base_b.kd
    .uniform_work_group_size: 1
    .uses_dynamic_stack: false
    .vgpr_count:     17
    .vgpr_spill_count: 0
    .wavefront_size: 64
  - .args:
      - .offset:         0
        .size:           8
        .value_kind:     by_value
      - .offset:         8
        .size:           8
        .value_kind:     by_value
      - .offset:         16
        .size:           8
        .value_kind:     by_value
      - .actual_access:  read_only
        .address_space:  global
        .offset:         24
        .size:           8
        .value_kind:     global_buffer
      - .actual_access:  read_only
        .address_space:  global
        .offset:         32
        .size:           8
        .value_kind:     global_buffer
      - .actual_access:  read_only
        .address_space:  global
        .offset:         40
        .size:           8
        .value_kind:     global_buffer
      - .actual_access:  read_only
        .address_space:  global
        .offset:         48
        .size:           8
        .value_kind:     global_buffer
      - .address_space:  global
        .offset:         56
        .size:           8
        .value_kind:     global_buffer
      - .actual_access:  write_only
        .address_space:  global
        .offset:         64
        .size:           8
        .value_kind:     global_buffer
      - .actual_access:  write_only
        .address_space:  global
        .offset:         72
        .size:           8
        .value_kind:     global_buffer
      - .offset:         80
        .size:           4
        .value_kind:     by_value
      - .offset:         84
        .size:           1
        .value_kind:     by_value
    .group_segment_fixed_size: 3072
    .kernarg_segment_align: 8
    .kernarg_segment_size: 88
    .language:       OpenCL C
    .language_version:
      - 2
      - 0
    .max_flat_workgroup_size: 256
    .name:           _ZN9rocsparseL22coomvn_segmented_loopsILj256ElaaiiEEvlT0_NS_24const_host_device_scalarIT4_EEPKS1_S6_PKT1_PKT2_PT3_PS1_PS3_21rocsparse_index_base_b
    .private_segment_fixed_size: 0
    .sgpr_count:     54
    .sgpr_spill_count: 0
    .symbol:         _ZN9rocsparseL22coomvn_segmented_loopsILj256ElaaiiEEvlT0_NS_24const_host_device_scalarIT4_EEPKS1_S6_PKT1_PKT2_PT3_PS1_PS3_21rocsparse_index_base_b.kd
    .uniform_work_group_size: 1
    .uses_dynamic_stack: false
    .vgpr_count:     32
    .vgpr_spill_count: 0
    .wavefront_size: 64
  - .args:
      - .offset:         0
        .size:           8
        .value_kind:     by_value
      - .offset:         8
        .size:           8
        .value_kind:     by_value
      - .actual_access:  read_only
        .address_space:  global
        .offset:         16
        .size:           8
        .value_kind:     global_buffer
      - .actual_access:  read_only
        .address_space:  global
        .offset:         24
        .size:           8
        .value_kind:     global_buffer
      - .address_space:  global
        .offset:         32
        .size:           8
        .value_kind:     global_buffer
      - .offset:         40
        .size:           1
        .value_kind:     by_value
    .group_segment_fixed_size: 3072
    .kernarg_segment_align: 8
    .kernarg_segment_size: 44
    .language:       OpenCL C
    .language_version:
      - 2
      - 0
    .max_flat_workgroup_size: 256
    .name:           _ZN9rocsparseL29coomvn_segmented_loops_reduceILj256EliiEEvT0_NS_24const_host_device_scalarIT2_EEPKS1_PKS3_PT1_b
    .private_segment_fixed_size: 0
    .sgpr_count:     32
    .sgpr_spill_count: 0
    .symbol:         _ZN9rocsparseL29coomvn_segmented_loops_reduceILj256EliiEEvT0_NS_24const_host_device_scalarIT2_EEPKS1_PKS3_PT1_b.kd
    .uniform_work_group_size: 1
    .uses_dynamic_stack: false
    .vgpr_count:     31
    .vgpr_spill_count: 0
    .wavefront_size: 64
  - .args:
      - .offset:         0
        .size:           4
        .value_kind:     by_value
      - .offset:         8
        .size:           8
        .value_kind:     by_value
      - .offset:         16
        .size:           8
        .value_kind:     by_value
      - .actual_access:  read_only
        .address_space:  global
        .offset:         24
        .size:           8
        .value_kind:     global_buffer
      - .actual_access:  read_only
        .address_space:  global
        .offset:         32
        .size:           8
        .value_kind:     global_buffer
      - .actual_access:  read_only
        .address_space:  global
        .offset:         40
        .size:           8
        .value_kind:     global_buffer
      - .actual_access:  read_only
        .address_space:  global
        .offset:         48
        .size:           8
        .value_kind:     global_buffer
      - .address_space:  global
        .offset:         56
        .size:           8
        .value_kind:     global_buffer
      - .offset:         64
        .size:           4
        .value_kind:     by_value
      - .offset:         68
        .size:           1
        .value_kind:     by_value
      - .offset:         72
        .size:           4
        .value_kind:     hidden_block_count_x
      - .offset:         76
        .size:           4
        .value_kind:     hidden_block_count_y
      - .offset:         80
        .size:           4
        .value_kind:     hidden_block_count_z
      - .offset:         84
        .size:           2
        .value_kind:     hidden_group_size_x
      - .offset:         86
        .size:           2
        .value_kind:     hidden_group_size_y
      - .offset:         88
        .size:           2
        .value_kind:     hidden_group_size_z
      - .offset:         90
        .size:           2
        .value_kind:     hidden_remainder_x
      - .offset:         92
        .size:           2
        .value_kind:     hidden_remainder_y
      - .offset:         94
        .size:           2
        .value_kind:     hidden_remainder_z
      - .offset:         112
        .size:           8
        .value_kind:     hidden_global_offset_x
      - .offset:         120
        .size:           8
        .value_kind:     hidden_global_offset_y
      - .offset:         128
        .size:           8
        .value_kind:     hidden_global_offset_z
      - .offset:         136
        .size:           2
        .value_kind:     hidden_grid_dims
    .group_segment_fixed_size: 0
    .kernarg_segment_align: 8
    .kernarg_segment_size: 328
    .language:       OpenCL C
    .language_version:
      - 2
      - 0
    .max_flat_workgroup_size: 1024
    .name:           _ZN9rocsparseL13coomvt_kernelILj1024ElaaiiEEv20rocsparse_operation_lNS_24const_host_device_scalarIT4_EEPKT0_S7_PKT1_PKT2_PT3_21rocsparse_index_base_b
    .private_segment_fixed_size: 0
    .sgpr_count:     22
    .sgpr_spill_count: 0
    .symbol:         _ZN9rocsparseL13coomvt_kernelILj1024ElaaiiEEv20rocsparse_operation_lNS_24const_host_device_scalarIT4_EEPKT0_S7_PKT1_PKT2_PT3_21rocsparse_index_base_b.kd
    .uniform_work_group_size: 1
    .uses_dynamic_stack: false
    .vgpr_count:     11
    .vgpr_spill_count: 0
    .wavefront_size: 64
  - .args:
      - .offset:         0
        .size:           8
        .value_kind:     by_value
      - .offset:         8
        .size:           8
        .value_kind:     by_value
      - .actual_access:  read_only
        .address_space:  global
        .offset:         16
        .size:           8
        .value_kind:     global_buffer
      - .actual_access:  read_only
        .address_space:  global
        .offset:         24
        .size:           8
        .value_kind:     global_buffer
      - .actual_access:  read_only
        .address_space:  global
        .offset:         32
        .size:           8
        .value_kind:     global_buffer
      - .actual_access:  read_only
        .address_space:  global
        .offset:         40
        .size:           8
        .value_kind:     global_buffer
      - .address_space:  global
        .offset:         48
        .size:           8
        .value_kind:     global_buffer
      - .offset:         56
        .size:           4
        .value_kind:     by_value
      - .offset:         60
        .size:           1
        .value_kind:     by_value
    .group_segment_fixed_size: 3072
    .kernarg_segment_align: 8
    .kernarg_segment_size: 64
    .language:       OpenCL C
    .language_version:
      - 2
      - 0
    .max_flat_workgroup_size: 256
    .name:           _ZN9rocsparseL19coomvn_atomic_loopsILj256ELj1ElaaiiEEvlNS_24const_host_device_scalarIT5_EEPKT1_S6_PKT2_PKT3_PT4_21rocsparse_index_base_b
    .private_segment_fixed_size: 0
    .sgpr_count:     22
    .sgpr_spill_count: 0
    .symbol:         _ZN9rocsparseL19coomvn_atomic_loopsILj256ELj1ElaaiiEEvlNS_24const_host_device_scalarIT5_EEPKT1_S6_PKT2_PKT3_PT4_21rocsparse_index_base_b.kd
    .uniform_work_group_size: 1
    .uses_dynamic_stack: false
    .vgpr_count:     12
    .vgpr_spill_count: 0
    .wavefront_size: 64
  - .args:
      - .offset:         0
        .size:           8
        .value_kind:     by_value
      - .offset:         8
        .size:           8
        .value_kind:     by_value
      - .actual_access:  read_only
        .address_space:  global
        .offset:         16
        .size:           8
        .value_kind:     global_buffer
      - .actual_access:  read_only
        .address_space:  global
        .offset:         24
        .size:           8
        .value_kind:     global_buffer
      - .actual_access:  read_only
        .address_space:  global
        .offset:         32
        .size:           8
        .value_kind:     global_buffer
      - .actual_access:  read_only
        .address_space:  global
        .offset:         40
        .size:           8
        .value_kind:     global_buffer
      - .address_space:  global
        .offset:         48
        .size:           8
        .value_kind:     global_buffer
      - .offset:         56
        .size:           4
        .value_kind:     by_value
      - .offset:         60
        .size:           1
        .value_kind:     by_value
    .group_segment_fixed_size: 3072
    .kernarg_segment_align: 8
    .kernarg_segment_size: 64
    .language:       OpenCL C
    .language_version:
      - 2
      - 0
    .max_flat_workgroup_size: 256
    .name:           _ZN9rocsparseL19coomvn_atomic_loopsILj256ELj2ElaaiiEEvlNS_24const_host_device_scalarIT5_EEPKT1_S6_PKT2_PKT3_PT4_21rocsparse_index_base_b
    .private_segment_fixed_size: 0
    .sgpr_count:     44
    .sgpr_spill_count: 0
    .symbol:         _ZN9rocsparseL19coomvn_atomic_loopsILj256ELj2ElaaiiEEvlNS_24const_host_device_scalarIT5_EEPKT1_S6_PKT2_PKT3_PT4_21rocsparse_index_base_b.kd
    .uniform_work_group_size: 1
    .uses_dynamic_stack: false
    .vgpr_count:     18
    .vgpr_spill_count: 0
    .wavefront_size: 64
  - .args:
      - .offset:         0
        .size:           8
        .value_kind:     by_value
      - .offset:         8
        .size:           4
        .value_kind:     by_value
      - .offset:         16
        .size:           8
        .value_kind:     by_value
      - .actual_access:  read_only
        .address_space:  global
        .offset:         24
        .size:           8
        .value_kind:     global_buffer
      - .actual_access:  read_only
        .address_space:  global
        .offset:         32
        .size:           8
        .value_kind:     global_buffer
      - .actual_access:  read_only
        .address_space:  global
        .offset:         40
        .size:           8
        .value_kind:     global_buffer
      - .actual_access:  read_only
        .address_space:  global
        .offset:         48
        .size:           8
        .value_kind:     global_buffer
      - .address_space:  global
        .offset:         56
        .size:           8
        .value_kind:     global_buffer
      - .actual_access:  write_only
        .address_space:  global
        .offset:         64
        .size:           8
        .value_kind:     global_buffer
      - .actual_access:  write_only
        .address_space:  global
        .offset:         72
        .size:           8
        .value_kind:     global_buffer
      - .offset:         80
        .size:           4
        .value_kind:     by_value
      - .offset:         84
        .size:           1
        .value_kind:     by_value
    .group_segment_fixed_size: 2048
    .kernarg_segment_align: 8
    .kernarg_segment_size: 88
    .language:       OpenCL C
    .language_version:
      - 2
      - 0
    .max_flat_workgroup_size: 256
    .name:           _ZN9rocsparseL22coomvn_segmented_loopsILj256EiaaffEEvlT0_NS_24const_host_device_scalarIT4_EEPKS1_S6_PKT1_PKT2_PT3_PS1_PS3_21rocsparse_index_base_b
    .private_segment_fixed_size: 0
    .sgpr_count:     50
    .sgpr_spill_count: 0
    .symbol:         _ZN9rocsparseL22coomvn_segmented_loopsILj256EiaaffEEvlT0_NS_24const_host_device_scalarIT4_EEPKS1_S6_PKT1_PKT2_PT3_PS1_PS3_21rocsparse_index_base_b.kd
    .uniform_work_group_size: 1
    .uses_dynamic_stack: false
    .vgpr_count:     27
    .vgpr_spill_count: 0
    .wavefront_size: 64
  - .args:
      - .offset:         0
        .size:           4
        .value_kind:     by_value
      - .offset:         8
        .size:           8
        .value_kind:     by_value
      - .offset:         16
        .size:           8
        .value_kind:     by_value
      - .actual_access:  read_only
        .address_space:  global
        .offset:         24
        .size:           8
        .value_kind:     global_buffer
      - .actual_access:  read_only
        .address_space:  global
        .offset:         32
        .size:           8
        .value_kind:     global_buffer
      - .actual_access:  read_only
        .address_space:  global
        .offset:         40
        .size:           8
        .value_kind:     global_buffer
      - .actual_access:  read_only
        .address_space:  global
        .offset:         48
        .size:           8
        .value_kind:     global_buffer
      - .address_space:  global
        .offset:         56
        .size:           8
        .value_kind:     global_buffer
      - .offset:         64
        .size:           4
        .value_kind:     by_value
      - .offset:         68
        .size:           1
        .value_kind:     by_value
      - .offset:         72
        .size:           4
        .value_kind:     hidden_block_count_x
      - .offset:         76
        .size:           4
        .value_kind:     hidden_block_count_y
      - .offset:         80
        .size:           4
        .value_kind:     hidden_block_count_z
      - .offset:         84
        .size:           2
        .value_kind:     hidden_group_size_x
      - .offset:         86
        .size:           2
        .value_kind:     hidden_group_size_y
      - .offset:         88
        .size:           2
        .value_kind:     hidden_group_size_z
      - .offset:         90
        .size:           2
        .value_kind:     hidden_remainder_x
      - .offset:         92
        .size:           2
        .value_kind:     hidden_remainder_y
      - .offset:         94
        .size:           2
        .value_kind:     hidden_remainder_z
      - .offset:         112
        .size:           8
        .value_kind:     hidden_global_offset_x
      - .offset:         120
        .size:           8
        .value_kind:     hidden_global_offset_y
      - .offset:         128
        .size:           8
        .value_kind:     hidden_global_offset_z
      - .offset:         136
        .size:           2
        .value_kind:     hidden_grid_dims
    .group_segment_fixed_size: 0
    .kernarg_segment_align: 8
    .kernarg_segment_size: 328
    .language:       OpenCL C
    .language_version:
      - 2
      - 0
    .max_flat_workgroup_size: 1024
    .name:           _ZN9rocsparseL13coomvt_kernelILj1024EiaaffEEv20rocsparse_operation_lNS_24const_host_device_scalarIT4_EEPKT0_S7_PKT1_PKT2_PT3_21rocsparse_index_base_b
    .private_segment_fixed_size: 0
    .sgpr_count:     22
    .sgpr_spill_count: 0
    .symbol:         _ZN9rocsparseL13coomvt_kernelILj1024EiaaffEEv20rocsparse_operation_lNS_24const_host_device_scalarIT4_EEPKT0_S7_PKT1_PKT2_PT3_21rocsparse_index_base_b.kd
    .uniform_work_group_size: 1
    .uses_dynamic_stack: false
    .vgpr_count:     8
    .vgpr_spill_count: 0
    .wavefront_size: 64
  - .args:
      - .offset:         0
        .size:           8
        .value_kind:     by_value
      - .offset:         8
        .size:           8
        .value_kind:     by_value
      - .actual_access:  read_only
        .address_space:  global
        .offset:         16
        .size:           8
        .value_kind:     global_buffer
      - .actual_access:  read_only
        .address_space:  global
        .offset:         24
        .size:           8
        .value_kind:     global_buffer
      - .actual_access:  read_only
        .address_space:  global
        .offset:         32
        .size:           8
        .value_kind:     global_buffer
      - .actual_access:  read_only
        .address_space:  global
        .offset:         40
        .size:           8
        .value_kind:     global_buffer
      - .address_space:  global
        .offset:         48
        .size:           8
        .value_kind:     global_buffer
      - .offset:         56
        .size:           4
        .value_kind:     by_value
      - .offset:         60
        .size:           1
        .value_kind:     by_value
    .group_segment_fixed_size: 2048
    .kernarg_segment_align: 8
    .kernarg_segment_size: 64
    .language:       OpenCL C
    .language_version:
      - 2
      - 0
    .max_flat_workgroup_size: 256
    .name:           _ZN9rocsparseL19coomvn_atomic_loopsILj256ELj1EiaaffEEvlNS_24const_host_device_scalarIT5_EEPKT1_S6_PKT2_PKT3_PT4_21rocsparse_index_base_b
    .private_segment_fixed_size: 0
    .sgpr_count:     22
    .sgpr_spill_count: 0
    .symbol:         _ZN9rocsparseL19coomvn_atomic_loopsILj256ELj1EiaaffEEvlNS_24const_host_device_scalarIT5_EEPKT1_S6_PKT2_PKT3_PT4_21rocsparse_index_base_b.kd
    .uniform_work_group_size: 1
    .uses_dynamic_stack: false
    .vgpr_count:     10
    .vgpr_spill_count: 0
    .wavefront_size: 64
  - .args:
      - .offset:         0
        .size:           8
        .value_kind:     by_value
      - .offset:         8
        .size:           8
        .value_kind:     by_value
      - .actual_access:  read_only
        .address_space:  global
        .offset:         16
        .size:           8
        .value_kind:     global_buffer
      - .actual_access:  read_only
        .address_space:  global
        .offset:         24
        .size:           8
        .value_kind:     global_buffer
      - .actual_access:  read_only
        .address_space:  global
        .offset:         32
        .size:           8
        .value_kind:     global_buffer
      - .actual_access:  read_only
        .address_space:  global
        .offset:         40
        .size:           8
        .value_kind:     global_buffer
      - .address_space:  global
        .offset:         48
        .size:           8
        .value_kind:     global_buffer
      - .offset:         56
        .size:           4
        .value_kind:     by_value
      - .offset:         60
        .size:           1
        .value_kind:     by_value
    .group_segment_fixed_size: 2048
    .kernarg_segment_align: 8
    .kernarg_segment_size: 64
    .language:       OpenCL C
    .language_version:
      - 2
      - 0
    .max_flat_workgroup_size: 256
    .name:           _ZN9rocsparseL19coomvn_atomic_loopsILj256ELj2EiaaffEEvlNS_24const_host_device_scalarIT5_EEPKT1_S6_PKT2_PKT3_PT4_21rocsparse_index_base_b
    .private_segment_fixed_size: 0
    .sgpr_count:     46
    .sgpr_spill_count: 0
    .symbol:         _ZN9rocsparseL19coomvn_atomic_loopsILj256ELj2EiaaffEEvlNS_24const_host_device_scalarIT5_EEPKT1_S6_PKT2_PKT3_PT4_21rocsparse_index_base_b.kd
    .uniform_work_group_size: 1
    .uses_dynamic_stack: false
    .vgpr_count:     16
    .vgpr_spill_count: 0
    .wavefront_size: 64
  - .args:
      - .offset:         0
        .size:           8
        .value_kind:     by_value
      - .offset:         8
        .size:           8
        .value_kind:     by_value
      - .offset:         16
        .size:           8
        .value_kind:     by_value
      - .actual_access:  read_only
        .address_space:  global
        .offset:         24
        .size:           8
        .value_kind:     global_buffer
      - .actual_access:  read_only
        .address_space:  global
        .offset:         32
        .size:           8
        .value_kind:     global_buffer
      - .actual_access:  read_only
        .address_space:  global
        .offset:         40
        .size:           8
        .value_kind:     global_buffer
      - .actual_access:  read_only
        .address_space:  global
        .offset:         48
        .size:           8
        .value_kind:     global_buffer
      - .address_space:  global
        .offset:         56
        .size:           8
        .value_kind:     global_buffer
      - .actual_access:  write_only
        .address_space:  global
        .offset:         64
        .size:           8
        .value_kind:     global_buffer
      - .actual_access:  write_only
        .address_space:  global
        .offset:         72
        .size:           8
        .value_kind:     global_buffer
      - .offset:         80
        .size:           4
        .value_kind:     by_value
      - .offset:         84
        .size:           1
        .value_kind:     by_value
    .group_segment_fixed_size: 3072
    .kernarg_segment_align: 8
    .kernarg_segment_size: 88
    .language:       OpenCL C
    .language_version:
      - 2
      - 0
    .max_flat_workgroup_size: 256
    .name:           _ZN9rocsparseL22coomvn_segmented_loopsILj256ElaaffEEvlT0_NS_24const_host_device_scalarIT4_EEPKS1_S6_PKT1_PKT2_PT3_PS1_PS3_21rocsparse_index_base_b
    .private_segment_fixed_size: 0
    .sgpr_count:     56
    .sgpr_spill_count: 0
    .symbol:         _ZN9rocsparseL22coomvn_segmented_loopsILj256ElaaffEEvlT0_NS_24const_host_device_scalarIT4_EEPKS1_S6_PKT1_PKT2_PT3_PS1_PS3_21rocsparse_index_base_b.kd
    .uniform_work_group_size: 1
    .uses_dynamic_stack: false
    .vgpr_count:     32
    .vgpr_spill_count: 0
    .wavefront_size: 64
  - .args:
      - .offset:         0
        .size:           4
        .value_kind:     by_value
      - .offset:         8
        .size:           8
        .value_kind:     by_value
      - .offset:         16
        .size:           8
        .value_kind:     by_value
      - .actual_access:  read_only
        .address_space:  global
        .offset:         24
        .size:           8
        .value_kind:     global_buffer
      - .actual_access:  read_only
        .address_space:  global
        .offset:         32
        .size:           8
        .value_kind:     global_buffer
      - .actual_access:  read_only
        .address_space:  global
        .offset:         40
        .size:           8
        .value_kind:     global_buffer
      - .actual_access:  read_only
        .address_space:  global
        .offset:         48
        .size:           8
        .value_kind:     global_buffer
      - .address_space:  global
        .offset:         56
        .size:           8
        .value_kind:     global_buffer
      - .offset:         64
        .size:           4
        .value_kind:     by_value
      - .offset:         68
        .size:           1
        .value_kind:     by_value
      - .offset:         72
        .size:           4
        .value_kind:     hidden_block_count_x
      - .offset:         76
        .size:           4
        .value_kind:     hidden_block_count_y
      - .offset:         80
        .size:           4
        .value_kind:     hidden_block_count_z
      - .offset:         84
        .size:           2
        .value_kind:     hidden_group_size_x
      - .offset:         86
        .size:           2
        .value_kind:     hidden_group_size_y
      - .offset:         88
        .size:           2
        .value_kind:     hidden_group_size_z
      - .offset:         90
        .size:           2
        .value_kind:     hidden_remainder_x
      - .offset:         92
        .size:           2
        .value_kind:     hidden_remainder_y
      - .offset:         94
        .size:           2
        .value_kind:     hidden_remainder_z
      - .offset:         112
        .size:           8
        .value_kind:     hidden_global_offset_x
      - .offset:         120
        .size:           8
        .value_kind:     hidden_global_offset_y
      - .offset:         128
        .size:           8
        .value_kind:     hidden_global_offset_z
      - .offset:         136
        .size:           2
        .value_kind:     hidden_grid_dims
    .group_segment_fixed_size: 0
    .kernarg_segment_align: 8
    .kernarg_segment_size: 328
    .language:       OpenCL C
    .language_version:
      - 2
      - 0
    .max_flat_workgroup_size: 1024
    .name:           _ZN9rocsparseL13coomvt_kernelILj1024ElaaffEEv20rocsparse_operation_lNS_24const_host_device_scalarIT4_EEPKT0_S7_PKT1_PKT2_PT3_21rocsparse_index_base_b
    .private_segment_fixed_size: 0
    .sgpr_count:     22
    .sgpr_spill_count: 0
    .symbol:         _ZN9rocsparseL13coomvt_kernelILj1024ElaaffEEv20rocsparse_operation_lNS_24const_host_device_scalarIT4_EEPKT0_S7_PKT1_PKT2_PT3_21rocsparse_index_base_b.kd
    .uniform_work_group_size: 1
    .uses_dynamic_stack: false
    .vgpr_count:     9
    .vgpr_spill_count: 0
    .wavefront_size: 64
  - .args:
      - .offset:         0
        .size:           8
        .value_kind:     by_value
      - .offset:         8
        .size:           8
        .value_kind:     by_value
      - .actual_access:  read_only
        .address_space:  global
        .offset:         16
        .size:           8
        .value_kind:     global_buffer
      - .actual_access:  read_only
        .address_space:  global
        .offset:         24
        .size:           8
        .value_kind:     global_buffer
      - .actual_access:  read_only
        .address_space:  global
        .offset:         32
        .size:           8
        .value_kind:     global_buffer
      - .actual_access:  read_only
        .address_space:  global
        .offset:         40
        .size:           8
        .value_kind:     global_buffer
      - .address_space:  global
        .offset:         48
        .size:           8
        .value_kind:     global_buffer
      - .offset:         56
        .size:           4
        .value_kind:     by_value
      - .offset:         60
        .size:           1
        .value_kind:     by_value
    .group_segment_fixed_size: 3072
    .kernarg_segment_align: 8
    .kernarg_segment_size: 64
    .language:       OpenCL C
    .language_version:
      - 2
      - 0
    .max_flat_workgroup_size: 256
    .name:           _ZN9rocsparseL19coomvn_atomic_loopsILj256ELj1ElaaffEEvlNS_24const_host_device_scalarIT5_EEPKT1_S6_PKT2_PKT3_PT4_21rocsparse_index_base_b
    .private_segment_fixed_size: 0
    .sgpr_count:     22
    .sgpr_spill_count: 0
    .symbol:         _ZN9rocsparseL19coomvn_atomic_loopsILj256ELj1ElaaffEEvlNS_24const_host_device_scalarIT5_EEPKT1_S6_PKT2_PKT3_PT4_21rocsparse_index_base_b.kd
    .uniform_work_group_size: 1
    .uses_dynamic_stack: false
    .vgpr_count:     10
    .vgpr_spill_count: 0
    .wavefront_size: 64
  - .args:
      - .offset:         0
        .size:           8
        .value_kind:     by_value
      - .offset:         8
        .size:           8
        .value_kind:     by_value
      - .actual_access:  read_only
        .address_space:  global
        .offset:         16
        .size:           8
        .value_kind:     global_buffer
      - .actual_access:  read_only
        .address_space:  global
        .offset:         24
        .size:           8
        .value_kind:     global_buffer
      - .actual_access:  read_only
        .address_space:  global
        .offset:         32
        .size:           8
        .value_kind:     global_buffer
      - .actual_access:  read_only
        .address_space:  global
        .offset:         40
        .size:           8
        .value_kind:     global_buffer
      - .address_space:  global
        .offset:         48
        .size:           8
        .value_kind:     global_buffer
      - .offset:         56
        .size:           4
        .value_kind:     by_value
      - .offset:         60
        .size:           1
        .value_kind:     by_value
    .group_segment_fixed_size: 3072
    .kernarg_segment_align: 8
    .kernarg_segment_size: 64
    .language:       OpenCL C
    .language_version:
      - 2
      - 0
    .max_flat_workgroup_size: 256
    .name:           _ZN9rocsparseL19coomvn_atomic_loopsILj256ELj2ElaaffEEvlNS_24const_host_device_scalarIT5_EEPKT1_S6_PKT2_PKT3_PT4_21rocsparse_index_base_b
    .private_segment_fixed_size: 0
    .sgpr_count:     46
    .sgpr_spill_count: 0
    .symbol:         _ZN9rocsparseL19coomvn_atomic_loopsILj256ELj2ElaaffEEvlNS_24const_host_device_scalarIT5_EEPKT1_S6_PKT2_PKT3_PT4_21rocsparse_index_base_b.kd
    .uniform_work_group_size: 1
    .uses_dynamic_stack: false
    .vgpr_count:     16
    .vgpr_spill_count: 0
    .wavefront_size: 64
  - .args:
      - .offset:         0
        .size:           8
        .value_kind:     by_value
      - .offset:         8
        .size:           4
        .value_kind:     by_value
      - .offset:         16
        .size:           8
        .value_kind:     by_value
      - .actual_access:  read_only
        .address_space:  global
        .offset:         24
        .size:           8
        .value_kind:     global_buffer
      - .actual_access:  read_only
        .address_space:  global
        .offset:         32
        .size:           8
        .value_kind:     global_buffer
      - .actual_access:  read_only
        .address_space:  global
        .offset:         40
        .size:           8
        .value_kind:     global_buffer
      - .actual_access:  read_only
        .address_space:  global
        .offset:         48
        .size:           8
        .value_kind:     global_buffer
      - .address_space:  global
        .offset:         56
        .size:           8
        .value_kind:     global_buffer
      - .actual_access:  write_only
        .address_space:  global
        .offset:         64
        .size:           8
        .value_kind:     global_buffer
      - .actual_access:  write_only
        .address_space:  global
        .offset:         72
        .size:           8
        .value_kind:     global_buffer
      - .offset:         80
        .size:           4
        .value_kind:     by_value
      - .offset:         84
        .size:           1
        .value_kind:     by_value
    .group_segment_fixed_size: 2048
    .kernarg_segment_align: 8
    .kernarg_segment_size: 88
    .language:       OpenCL C
    .language_version:
      - 2
      - 0
    .max_flat_workgroup_size: 256
    .name:           _ZN9rocsparseL22coomvn_segmented_loopsILj256EiDF16_DF16_ffEEvlT0_NS_24const_host_device_scalarIT4_EEPKS1_S6_PKT1_PKT2_PT3_PS1_PS3_21rocsparse_index_base_b
    .private_segment_fixed_size: 0
    .sgpr_count:     50
    .sgpr_spill_count: 0
    .symbol:         _ZN9rocsparseL22coomvn_segmented_loopsILj256EiDF16_DF16_ffEEvlT0_NS_24const_host_device_scalarIT4_EEPKS1_S6_PKT1_PKT2_PT3_PS1_PS3_21rocsparse_index_base_b.kd
    .uniform_work_group_size: 1
    .uses_dynamic_stack: false
    .vgpr_count:     31
    .vgpr_spill_count: 0
    .wavefront_size: 64
  - .args:
      - .offset:         0
        .size:           4
        .value_kind:     by_value
      - .offset:         8
        .size:           8
        .value_kind:     by_value
      - .offset:         16
        .size:           8
        .value_kind:     by_value
      - .actual_access:  read_only
        .address_space:  global
        .offset:         24
        .size:           8
        .value_kind:     global_buffer
      - .actual_access:  read_only
        .address_space:  global
        .offset:         32
        .size:           8
        .value_kind:     global_buffer
      - .actual_access:  read_only
        .address_space:  global
        .offset:         40
        .size:           8
        .value_kind:     global_buffer
      - .actual_access:  read_only
        .address_space:  global
        .offset:         48
        .size:           8
        .value_kind:     global_buffer
      - .address_space:  global
        .offset:         56
        .size:           8
        .value_kind:     global_buffer
      - .offset:         64
        .size:           4
        .value_kind:     by_value
      - .offset:         68
        .size:           1
        .value_kind:     by_value
      - .offset:         72
        .size:           4
        .value_kind:     hidden_block_count_x
      - .offset:         76
        .size:           4
        .value_kind:     hidden_block_count_y
      - .offset:         80
        .size:           4
        .value_kind:     hidden_block_count_z
      - .offset:         84
        .size:           2
        .value_kind:     hidden_group_size_x
      - .offset:         86
        .size:           2
        .value_kind:     hidden_group_size_y
      - .offset:         88
        .size:           2
        .value_kind:     hidden_group_size_z
      - .offset:         90
        .size:           2
        .value_kind:     hidden_remainder_x
      - .offset:         92
        .size:           2
        .value_kind:     hidden_remainder_y
      - .offset:         94
        .size:           2
        .value_kind:     hidden_remainder_z
      - .offset:         112
        .size:           8
        .value_kind:     hidden_global_offset_x
      - .offset:         120
        .size:           8
        .value_kind:     hidden_global_offset_y
      - .offset:         128
        .size:           8
        .value_kind:     hidden_global_offset_z
      - .offset:         136
        .size:           2
        .value_kind:     hidden_grid_dims
    .group_segment_fixed_size: 0
    .kernarg_segment_align: 8
    .kernarg_segment_size: 328
    .language:       OpenCL C
    .language_version:
      - 2
      - 0
    .max_flat_workgroup_size: 1024
    .name:           _ZN9rocsparseL13coomvt_kernelILj1024EiDF16_DF16_ffEEv20rocsparse_operation_lNS_24const_host_device_scalarIT4_EEPKT0_S7_PKT1_PKT2_PT3_21rocsparse_index_base_b
    .private_segment_fixed_size: 0
    .sgpr_count:     22
    .sgpr_spill_count: 0
    .symbol:         _ZN9rocsparseL13coomvt_kernelILj1024EiDF16_DF16_ffEEv20rocsparse_operation_lNS_24const_host_device_scalarIT4_EEPKT0_S7_PKT1_PKT2_PT3_21rocsparse_index_base_b.kd
    .uniform_work_group_size: 1
    .uses_dynamic_stack: false
    .vgpr_count:     8
    .vgpr_spill_count: 0
    .wavefront_size: 64
  - .args:
      - .offset:         0
        .size:           8
        .value_kind:     by_value
      - .offset:         8
        .size:           8
        .value_kind:     by_value
      - .actual_access:  read_only
        .address_space:  global
        .offset:         16
        .size:           8
        .value_kind:     global_buffer
      - .actual_access:  read_only
        .address_space:  global
        .offset:         24
        .size:           8
        .value_kind:     global_buffer
      - .actual_access:  read_only
        .address_space:  global
        .offset:         32
        .size:           8
        .value_kind:     global_buffer
      - .actual_access:  read_only
        .address_space:  global
        .offset:         40
        .size:           8
        .value_kind:     global_buffer
      - .address_space:  global
        .offset:         48
        .size:           8
        .value_kind:     global_buffer
      - .offset:         56
        .size:           4
        .value_kind:     by_value
      - .offset:         60
        .size:           1
        .value_kind:     by_value
    .group_segment_fixed_size: 2048
    .kernarg_segment_align: 8
    .kernarg_segment_size: 64
    .language:       OpenCL C
    .language_version:
      - 2
      - 0
    .max_flat_workgroup_size: 256
    .name:           _ZN9rocsparseL19coomvn_atomic_loopsILj256ELj1EiDF16_DF16_ffEEvlNS_24const_host_device_scalarIT5_EEPKT1_S6_PKT2_PKT3_PT4_21rocsparse_index_base_b
    .private_segment_fixed_size: 0
    .sgpr_count:     22
    .sgpr_spill_count: 0
    .symbol:         _ZN9rocsparseL19coomvn_atomic_loopsILj256ELj1EiDF16_DF16_ffEEvlNS_24const_host_device_scalarIT5_EEPKT1_S6_PKT2_PKT3_PT4_21rocsparse_index_base_b.kd
    .uniform_work_group_size: 1
    .uses_dynamic_stack: false
    .vgpr_count:     9
    .vgpr_spill_count: 0
    .wavefront_size: 64
  - .args:
      - .offset:         0
        .size:           8
        .value_kind:     by_value
      - .offset:         8
        .size:           8
        .value_kind:     by_value
      - .actual_access:  read_only
        .address_space:  global
        .offset:         16
        .size:           8
        .value_kind:     global_buffer
      - .actual_access:  read_only
        .address_space:  global
        .offset:         24
        .size:           8
        .value_kind:     global_buffer
      - .actual_access:  read_only
        .address_space:  global
        .offset:         32
        .size:           8
        .value_kind:     global_buffer
      - .actual_access:  read_only
        .address_space:  global
        .offset:         40
        .size:           8
        .value_kind:     global_buffer
      - .address_space:  global
        .offset:         48
        .size:           8
        .value_kind:     global_buffer
      - .offset:         56
        .size:           4
        .value_kind:     by_value
      - .offset:         60
        .size:           1
        .value_kind:     by_value
    .group_segment_fixed_size: 2048
    .kernarg_segment_align: 8
    .kernarg_segment_size: 64
    .language:       OpenCL C
    .language_version:
      - 2
      - 0
    .max_flat_workgroup_size: 256
    .name:           _ZN9rocsparseL19coomvn_atomic_loopsILj256ELj2EiDF16_DF16_ffEEvlNS_24const_host_device_scalarIT5_EEPKT1_S6_PKT2_PKT3_PT4_21rocsparse_index_base_b
    .private_segment_fixed_size: 0
    .sgpr_count:     46
    .sgpr_spill_count: 0
    .symbol:         _ZN9rocsparseL19coomvn_atomic_loopsILj256ELj2EiDF16_DF16_ffEEvlNS_24const_host_device_scalarIT5_EEPKT1_S6_PKT2_PKT3_PT4_21rocsparse_index_base_b.kd
    .uniform_work_group_size: 1
    .uses_dynamic_stack: false
    .vgpr_count:     18
    .vgpr_spill_count: 0
    .wavefront_size: 64
  - .args:
      - .offset:         0
        .size:           8
        .value_kind:     by_value
      - .offset:         8
        .size:           8
        .value_kind:     by_value
      - .offset:         16
        .size:           8
        .value_kind:     by_value
      - .actual_access:  read_only
        .address_space:  global
        .offset:         24
        .size:           8
        .value_kind:     global_buffer
      - .actual_access:  read_only
        .address_space:  global
        .offset:         32
        .size:           8
        .value_kind:     global_buffer
      - .actual_access:  read_only
        .address_space:  global
        .offset:         40
        .size:           8
        .value_kind:     global_buffer
      - .actual_access:  read_only
        .address_space:  global
        .offset:         48
        .size:           8
        .value_kind:     global_buffer
      - .address_space:  global
        .offset:         56
        .size:           8
        .value_kind:     global_buffer
      - .actual_access:  write_only
        .address_space:  global
        .offset:         64
        .size:           8
        .value_kind:     global_buffer
      - .actual_access:  write_only
        .address_space:  global
        .offset:         72
        .size:           8
        .value_kind:     global_buffer
      - .offset:         80
        .size:           4
        .value_kind:     by_value
      - .offset:         84
        .size:           1
        .value_kind:     by_value
    .group_segment_fixed_size: 3072
    .kernarg_segment_align: 8
    .kernarg_segment_size: 88
    .language:       OpenCL C
    .language_version:
      - 2
      - 0
    .max_flat_workgroup_size: 256
    .name:           _ZN9rocsparseL22coomvn_segmented_loopsILj256ElDF16_DF16_ffEEvlT0_NS_24const_host_device_scalarIT4_EEPKS1_S6_PKT1_PKT2_PT3_PS1_PS3_21rocsparse_index_base_b
    .private_segment_fixed_size: 0
    .sgpr_count:     54
    .sgpr_spill_count: 0
    .symbol:         _ZN9rocsparseL22coomvn_segmented_loopsILj256ElDF16_DF16_ffEEvlT0_NS_24const_host_device_scalarIT4_EEPKS1_S6_PKT1_PKT2_PT3_PS1_PS3_21rocsparse_index_base_b.kd
    .uniform_work_group_size: 1
    .uses_dynamic_stack: false
    .vgpr_count:     32
    .vgpr_spill_count: 0
    .wavefront_size: 64
  - .args:
      - .offset:         0
        .size:           4
        .value_kind:     by_value
      - .offset:         8
        .size:           8
        .value_kind:     by_value
      - .offset:         16
        .size:           8
        .value_kind:     by_value
      - .actual_access:  read_only
        .address_space:  global
        .offset:         24
        .size:           8
        .value_kind:     global_buffer
      - .actual_access:  read_only
        .address_space:  global
        .offset:         32
        .size:           8
        .value_kind:     global_buffer
      - .actual_access:  read_only
        .address_space:  global
        .offset:         40
        .size:           8
        .value_kind:     global_buffer
      - .actual_access:  read_only
        .address_space:  global
        .offset:         48
        .size:           8
        .value_kind:     global_buffer
      - .address_space:  global
        .offset:         56
        .size:           8
        .value_kind:     global_buffer
      - .offset:         64
        .size:           4
        .value_kind:     by_value
      - .offset:         68
        .size:           1
        .value_kind:     by_value
      - .offset:         72
        .size:           4
        .value_kind:     hidden_block_count_x
      - .offset:         76
        .size:           4
        .value_kind:     hidden_block_count_y
      - .offset:         80
        .size:           4
        .value_kind:     hidden_block_count_z
      - .offset:         84
        .size:           2
        .value_kind:     hidden_group_size_x
      - .offset:         86
        .size:           2
        .value_kind:     hidden_group_size_y
      - .offset:         88
        .size:           2
        .value_kind:     hidden_group_size_z
      - .offset:         90
        .size:           2
        .value_kind:     hidden_remainder_x
      - .offset:         92
        .size:           2
        .value_kind:     hidden_remainder_y
      - .offset:         94
        .size:           2
        .value_kind:     hidden_remainder_z
      - .offset:         112
        .size:           8
        .value_kind:     hidden_global_offset_x
      - .offset:         120
        .size:           8
        .value_kind:     hidden_global_offset_y
      - .offset:         128
        .size:           8
        .value_kind:     hidden_global_offset_z
      - .offset:         136
        .size:           2
        .value_kind:     hidden_grid_dims
    .group_segment_fixed_size: 0
    .kernarg_segment_align: 8
    .kernarg_segment_size: 328
    .language:       OpenCL C
    .language_version:
      - 2
      - 0
    .max_flat_workgroup_size: 1024
    .name:           _ZN9rocsparseL13coomvt_kernelILj1024ElDF16_DF16_ffEEv20rocsparse_operation_lNS_24const_host_device_scalarIT4_EEPKT0_S7_PKT1_PKT2_PT3_21rocsparse_index_base_b
    .private_segment_fixed_size: 0
    .sgpr_count:     22
    .sgpr_spill_count: 0
    .symbol:         _ZN9rocsparseL13coomvt_kernelILj1024ElDF16_DF16_ffEEv20rocsparse_operation_lNS_24const_host_device_scalarIT4_EEPKT0_S7_PKT1_PKT2_PT3_21rocsparse_index_base_b.kd
    .uniform_work_group_size: 1
    .uses_dynamic_stack: false
    .vgpr_count:     9
    .vgpr_spill_count: 0
    .wavefront_size: 64
  - .args:
      - .offset:         0
        .size:           8
        .value_kind:     by_value
      - .offset:         8
        .size:           8
        .value_kind:     by_value
      - .actual_access:  read_only
        .address_space:  global
        .offset:         16
        .size:           8
        .value_kind:     global_buffer
      - .actual_access:  read_only
        .address_space:  global
        .offset:         24
        .size:           8
        .value_kind:     global_buffer
      - .actual_access:  read_only
        .address_space:  global
        .offset:         32
        .size:           8
        .value_kind:     global_buffer
      - .actual_access:  read_only
        .address_space:  global
        .offset:         40
        .size:           8
        .value_kind:     global_buffer
      - .address_space:  global
        .offset:         48
        .size:           8
        .value_kind:     global_buffer
      - .offset:         56
        .size:           4
        .value_kind:     by_value
      - .offset:         60
        .size:           1
        .value_kind:     by_value
    .group_segment_fixed_size: 3072
    .kernarg_segment_align: 8
    .kernarg_segment_size: 64
    .language:       OpenCL C
    .language_version:
      - 2
      - 0
    .max_flat_workgroup_size: 256
    .name:           _ZN9rocsparseL19coomvn_atomic_loopsILj256ELj1ElDF16_DF16_ffEEvlNS_24const_host_device_scalarIT5_EEPKT1_S6_PKT2_PKT3_PT4_21rocsparse_index_base_b
    .private_segment_fixed_size: 0
    .sgpr_count:     22
    .sgpr_spill_count: 0
    .symbol:         _ZN9rocsparseL19coomvn_atomic_loopsILj256ELj1ElDF16_DF16_ffEEvlNS_24const_host_device_scalarIT5_EEPKT1_S6_PKT2_PKT3_PT4_21rocsparse_index_base_b.kd
    .uniform_work_group_size: 1
    .uses_dynamic_stack: false
    .vgpr_count:     10
    .vgpr_spill_count: 0
    .wavefront_size: 64
  - .args:
      - .offset:         0
        .size:           8
        .value_kind:     by_value
      - .offset:         8
        .size:           8
        .value_kind:     by_value
      - .actual_access:  read_only
        .address_space:  global
        .offset:         16
        .size:           8
        .value_kind:     global_buffer
      - .actual_access:  read_only
        .address_space:  global
        .offset:         24
        .size:           8
        .value_kind:     global_buffer
      - .actual_access:  read_only
        .address_space:  global
        .offset:         32
        .size:           8
        .value_kind:     global_buffer
      - .actual_access:  read_only
        .address_space:  global
        .offset:         40
        .size:           8
        .value_kind:     global_buffer
      - .address_space:  global
        .offset:         48
        .size:           8
        .value_kind:     global_buffer
      - .offset:         56
        .size:           4
        .value_kind:     by_value
      - .offset:         60
        .size:           1
        .value_kind:     by_value
    .group_segment_fixed_size: 3072
    .kernarg_segment_align: 8
    .kernarg_segment_size: 64
    .language:       OpenCL C
    .language_version:
      - 2
      - 0
    .max_flat_workgroup_size: 256
    .name:           _ZN9rocsparseL19coomvn_atomic_loopsILj256ELj2ElDF16_DF16_ffEEvlNS_24const_host_device_scalarIT5_EEPKT1_S6_PKT2_PKT3_PT4_21rocsparse_index_base_b
    .private_segment_fixed_size: 0
    .sgpr_count:     46
    .sgpr_spill_count: 0
    .symbol:         _ZN9rocsparseL19coomvn_atomic_loopsILj256ELj2ElDF16_DF16_ffEEvlNS_24const_host_device_scalarIT5_EEPKT1_S6_PKT2_PKT3_PT4_21rocsparse_index_base_b.kd
    .uniform_work_group_size: 1
    .uses_dynamic_stack: false
    .vgpr_count:     17
    .vgpr_spill_count: 0
    .wavefront_size: 64
  - .args:
      - .offset:         0
        .size:           8
        .value_kind:     by_value
      - .offset:         8
        .size:           4
        .value_kind:     by_value
      - .offset:         16
        .size:           8
        .value_kind:     by_value
      - .actual_access:  read_only
        .address_space:  global
        .offset:         24
        .size:           8
        .value_kind:     global_buffer
      - .actual_access:  read_only
        .address_space:  global
        .offset:         32
        .size:           8
        .value_kind:     global_buffer
      - .actual_access:  read_only
        .address_space:  global
        .offset:         40
        .size:           8
        .value_kind:     global_buffer
      - .actual_access:  read_only
        .address_space:  global
        .offset:         48
        .size:           8
        .value_kind:     global_buffer
      - .address_space:  global
        .offset:         56
        .size:           8
        .value_kind:     global_buffer
      - .actual_access:  write_only
        .address_space:  global
        .offset:         64
        .size:           8
        .value_kind:     global_buffer
      - .actual_access:  write_only
        .address_space:  global
        .offset:         72
        .size:           8
        .value_kind:     global_buffer
      - .offset:         80
        .size:           4
        .value_kind:     by_value
      - .offset:         84
        .size:           1
        .value_kind:     by_value
    .group_segment_fixed_size: 2048
    .kernarg_segment_align: 8
    .kernarg_segment_size: 88
    .language:       OpenCL C
    .language_version:
      - 2
      - 0
    .max_flat_workgroup_size: 256
    .name:           _ZN9rocsparseL22coomvn_segmented_loopsILj256Ei18rocsparse_bfloat16S1_ffEEvlT0_NS_24const_host_device_scalarIT4_EEPKS2_S7_PKT1_PKT2_PT3_PS2_PS4_21rocsparse_index_base_b
    .private_segment_fixed_size: 0
    .sgpr_count:     50
    .sgpr_spill_count: 0
    .symbol:         _ZN9rocsparseL22coomvn_segmented_loopsILj256Ei18rocsparse_bfloat16S1_ffEEvlT0_NS_24const_host_device_scalarIT4_EEPKS2_S7_PKT1_PKT2_PT3_PS2_PS4_21rocsparse_index_base_b.kd
    .uniform_work_group_size: 1
    .uses_dynamic_stack: false
    .vgpr_count:     30
    .vgpr_spill_count: 0
    .wavefront_size: 64
  - .args:
      - .offset:         0
        .size:           4
        .value_kind:     by_value
      - .offset:         8
        .size:           8
        .value_kind:     by_value
      - .offset:         16
        .size:           8
        .value_kind:     by_value
      - .actual_access:  read_only
        .address_space:  global
        .offset:         24
        .size:           8
        .value_kind:     global_buffer
      - .actual_access:  read_only
        .address_space:  global
        .offset:         32
        .size:           8
        .value_kind:     global_buffer
      - .actual_access:  read_only
        .address_space:  global
        .offset:         40
        .size:           8
        .value_kind:     global_buffer
      - .actual_access:  read_only
        .address_space:  global
        .offset:         48
        .size:           8
        .value_kind:     global_buffer
      - .address_space:  global
        .offset:         56
        .size:           8
        .value_kind:     global_buffer
      - .offset:         64
        .size:           4
        .value_kind:     by_value
      - .offset:         68
        .size:           1
        .value_kind:     by_value
      - .offset:         72
        .size:           4
        .value_kind:     hidden_block_count_x
      - .offset:         76
        .size:           4
        .value_kind:     hidden_block_count_y
      - .offset:         80
        .size:           4
        .value_kind:     hidden_block_count_z
      - .offset:         84
        .size:           2
        .value_kind:     hidden_group_size_x
      - .offset:         86
        .size:           2
        .value_kind:     hidden_group_size_y
      - .offset:         88
        .size:           2
        .value_kind:     hidden_group_size_z
      - .offset:         90
        .size:           2
        .value_kind:     hidden_remainder_x
      - .offset:         92
        .size:           2
        .value_kind:     hidden_remainder_y
      - .offset:         94
        .size:           2
        .value_kind:     hidden_remainder_z
      - .offset:         112
        .size:           8
        .value_kind:     hidden_global_offset_x
      - .offset:         120
        .size:           8
        .value_kind:     hidden_global_offset_y
      - .offset:         128
        .size:           8
        .value_kind:     hidden_global_offset_z
      - .offset:         136
        .size:           2
        .value_kind:     hidden_grid_dims
    .group_segment_fixed_size: 0
    .kernarg_segment_align: 8
    .kernarg_segment_size: 328
    .language:       OpenCL C
    .language_version:
      - 2
      - 0
    .max_flat_workgroup_size: 1024
    .name:           _ZN9rocsparseL13coomvt_kernelILj1024Ei18rocsparse_bfloat16S1_ffEEv20rocsparse_operation_lNS_24const_host_device_scalarIT4_EEPKT0_S8_PKT1_PKT2_PT3_21rocsparse_index_base_b
    .private_segment_fixed_size: 0
    .sgpr_count:     22
    .sgpr_spill_count: 0
    .symbol:         _ZN9rocsparseL13coomvt_kernelILj1024Ei18rocsparse_bfloat16S1_ffEEv20rocsparse_operation_lNS_24const_host_device_scalarIT4_EEPKT0_S8_PKT1_PKT2_PT3_21rocsparse_index_base_b.kd
    .uniform_work_group_size: 1
    .uses_dynamic_stack: false
    .vgpr_count:     8
    .vgpr_spill_count: 0
    .wavefront_size: 64
  - .args:
      - .offset:         0
        .size:           8
        .value_kind:     by_value
      - .offset:         8
        .size:           8
        .value_kind:     by_value
      - .actual_access:  read_only
        .address_space:  global
        .offset:         16
        .size:           8
        .value_kind:     global_buffer
      - .actual_access:  read_only
        .address_space:  global
        .offset:         24
        .size:           8
        .value_kind:     global_buffer
      - .actual_access:  read_only
        .address_space:  global
        .offset:         32
        .size:           8
        .value_kind:     global_buffer
      - .actual_access:  read_only
        .address_space:  global
        .offset:         40
        .size:           8
        .value_kind:     global_buffer
      - .address_space:  global
        .offset:         48
        .size:           8
        .value_kind:     global_buffer
      - .offset:         56
        .size:           4
        .value_kind:     by_value
      - .offset:         60
        .size:           1
        .value_kind:     by_value
    .group_segment_fixed_size: 2048
    .kernarg_segment_align: 8
    .kernarg_segment_size: 64
    .language:       OpenCL C
    .language_version:
      - 2
      - 0
    .max_flat_workgroup_size: 256
    .name:           _ZN9rocsparseL19coomvn_atomic_loopsILj256ELj1Ei18rocsparse_bfloat16S1_ffEEvlNS_24const_host_device_scalarIT5_EEPKT1_S7_PKT2_PKT3_PT4_21rocsparse_index_base_b
    .private_segment_fixed_size: 0
    .sgpr_count:     22
    .sgpr_spill_count: 0
    .symbol:         _ZN9rocsparseL19coomvn_atomic_loopsILj256ELj1Ei18rocsparse_bfloat16S1_ffEEvlNS_24const_host_device_scalarIT5_EEPKT1_S7_PKT2_PKT3_PT4_21rocsparse_index_base_b.kd
    .uniform_work_group_size: 1
    .uses_dynamic_stack: false
    .vgpr_count:     9
    .vgpr_spill_count: 0
    .wavefront_size: 64
  - .args:
      - .offset:         0
        .size:           8
        .value_kind:     by_value
      - .offset:         8
        .size:           8
        .value_kind:     by_value
      - .actual_access:  read_only
        .address_space:  global
        .offset:         16
        .size:           8
        .value_kind:     global_buffer
      - .actual_access:  read_only
        .address_space:  global
        .offset:         24
        .size:           8
        .value_kind:     global_buffer
      - .actual_access:  read_only
        .address_space:  global
        .offset:         32
        .size:           8
        .value_kind:     global_buffer
      - .actual_access:  read_only
        .address_space:  global
        .offset:         40
        .size:           8
        .value_kind:     global_buffer
      - .address_space:  global
        .offset:         48
        .size:           8
        .value_kind:     global_buffer
      - .offset:         56
        .size:           4
        .value_kind:     by_value
      - .offset:         60
        .size:           1
        .value_kind:     by_value
    .group_segment_fixed_size: 2048
    .kernarg_segment_align: 8
    .kernarg_segment_size: 64
    .language:       OpenCL C
    .language_version:
      - 2
      - 0
    .max_flat_workgroup_size: 256
    .name:           _ZN9rocsparseL19coomvn_atomic_loopsILj256ELj2Ei18rocsparse_bfloat16S1_ffEEvlNS_24const_host_device_scalarIT5_EEPKT1_S7_PKT2_PKT3_PT4_21rocsparse_index_base_b
    .private_segment_fixed_size: 0
    .sgpr_count:     46
    .sgpr_spill_count: 0
    .symbol:         _ZN9rocsparseL19coomvn_atomic_loopsILj256ELj2Ei18rocsparse_bfloat16S1_ffEEvlNS_24const_host_device_scalarIT5_EEPKT1_S7_PKT2_PKT3_PT4_21rocsparse_index_base_b.kd
    .uniform_work_group_size: 1
    .uses_dynamic_stack: false
    .vgpr_count:     18
    .vgpr_spill_count: 0
    .wavefront_size: 64
  - .args:
      - .offset:         0
        .size:           8
        .value_kind:     by_value
      - .offset:         8
        .size:           8
        .value_kind:     by_value
      - .offset:         16
        .size:           8
        .value_kind:     by_value
      - .actual_access:  read_only
        .address_space:  global
        .offset:         24
        .size:           8
        .value_kind:     global_buffer
      - .actual_access:  read_only
        .address_space:  global
        .offset:         32
        .size:           8
        .value_kind:     global_buffer
      - .actual_access:  read_only
        .address_space:  global
        .offset:         40
        .size:           8
        .value_kind:     global_buffer
      - .actual_access:  read_only
        .address_space:  global
        .offset:         48
        .size:           8
        .value_kind:     global_buffer
      - .address_space:  global
        .offset:         56
        .size:           8
        .value_kind:     global_buffer
      - .actual_access:  write_only
        .address_space:  global
        .offset:         64
        .size:           8
        .value_kind:     global_buffer
      - .actual_access:  write_only
        .address_space:  global
        .offset:         72
        .size:           8
        .value_kind:     global_buffer
      - .offset:         80
        .size:           4
        .value_kind:     by_value
      - .offset:         84
        .size:           1
        .value_kind:     by_value
    .group_segment_fixed_size: 3072
    .kernarg_segment_align: 8
    .kernarg_segment_size: 88
    .language:       OpenCL C
    .language_version:
      - 2
      - 0
    .max_flat_workgroup_size: 256
    .name:           _ZN9rocsparseL22coomvn_segmented_loopsILj256El18rocsparse_bfloat16S1_ffEEvlT0_NS_24const_host_device_scalarIT4_EEPKS2_S7_PKT1_PKT2_PT3_PS2_PS4_21rocsparse_index_base_b
    .private_segment_fixed_size: 0
    .sgpr_count:     54
    .sgpr_spill_count: 0
    .symbol:         _ZN9rocsparseL22coomvn_segmented_loopsILj256El18rocsparse_bfloat16S1_ffEEvlT0_NS_24const_host_device_scalarIT4_EEPKS2_S7_PKT1_PKT2_PT3_PS2_PS4_21rocsparse_index_base_b.kd
    .uniform_work_group_size: 1
    .uses_dynamic_stack: false
    .vgpr_count:     31
    .vgpr_spill_count: 0
    .wavefront_size: 64
  - .args:
      - .offset:         0
        .size:           4
        .value_kind:     by_value
      - .offset:         8
        .size:           8
        .value_kind:     by_value
      - .offset:         16
        .size:           8
        .value_kind:     by_value
      - .actual_access:  read_only
        .address_space:  global
        .offset:         24
        .size:           8
        .value_kind:     global_buffer
      - .actual_access:  read_only
        .address_space:  global
        .offset:         32
        .size:           8
        .value_kind:     global_buffer
      - .actual_access:  read_only
        .address_space:  global
        .offset:         40
        .size:           8
        .value_kind:     global_buffer
      - .actual_access:  read_only
        .address_space:  global
        .offset:         48
        .size:           8
        .value_kind:     global_buffer
      - .address_space:  global
        .offset:         56
        .size:           8
        .value_kind:     global_buffer
      - .offset:         64
        .size:           4
        .value_kind:     by_value
      - .offset:         68
        .size:           1
        .value_kind:     by_value
      - .offset:         72
        .size:           4
        .value_kind:     hidden_block_count_x
      - .offset:         76
        .size:           4
        .value_kind:     hidden_block_count_y
      - .offset:         80
        .size:           4
        .value_kind:     hidden_block_count_z
      - .offset:         84
        .size:           2
        .value_kind:     hidden_group_size_x
      - .offset:         86
        .size:           2
        .value_kind:     hidden_group_size_y
      - .offset:         88
        .size:           2
        .value_kind:     hidden_group_size_z
      - .offset:         90
        .size:           2
        .value_kind:     hidden_remainder_x
      - .offset:         92
        .size:           2
        .value_kind:     hidden_remainder_y
      - .offset:         94
        .size:           2
        .value_kind:     hidden_remainder_z
      - .offset:         112
        .size:           8
        .value_kind:     hidden_global_offset_x
      - .offset:         120
        .size:           8
        .value_kind:     hidden_global_offset_y
      - .offset:         128
        .size:           8
        .value_kind:     hidden_global_offset_z
      - .offset:         136
        .size:           2
        .value_kind:     hidden_grid_dims
    .group_segment_fixed_size: 0
    .kernarg_segment_align: 8
    .kernarg_segment_size: 328
    .language:       OpenCL C
    .language_version:
      - 2
      - 0
    .max_flat_workgroup_size: 1024
    .name:           _ZN9rocsparseL13coomvt_kernelILj1024El18rocsparse_bfloat16S1_ffEEv20rocsparse_operation_lNS_24const_host_device_scalarIT4_EEPKT0_S8_PKT1_PKT2_PT3_21rocsparse_index_base_b
    .private_segment_fixed_size: 0
    .sgpr_count:     22
    .sgpr_spill_count: 0
    .symbol:         _ZN9rocsparseL13coomvt_kernelILj1024El18rocsparse_bfloat16S1_ffEEv20rocsparse_operation_lNS_24const_host_device_scalarIT4_EEPKT0_S8_PKT1_PKT2_PT3_21rocsparse_index_base_b.kd
    .uniform_work_group_size: 1
    .uses_dynamic_stack: false
    .vgpr_count:     9
    .vgpr_spill_count: 0
    .wavefront_size: 64
  - .args:
      - .offset:         0
        .size:           8
        .value_kind:     by_value
      - .offset:         8
        .size:           8
        .value_kind:     by_value
      - .actual_access:  read_only
        .address_space:  global
        .offset:         16
        .size:           8
        .value_kind:     global_buffer
      - .actual_access:  read_only
        .address_space:  global
        .offset:         24
        .size:           8
        .value_kind:     global_buffer
      - .actual_access:  read_only
        .address_space:  global
        .offset:         32
        .size:           8
        .value_kind:     global_buffer
      - .actual_access:  read_only
        .address_space:  global
        .offset:         40
        .size:           8
        .value_kind:     global_buffer
      - .address_space:  global
        .offset:         48
        .size:           8
        .value_kind:     global_buffer
      - .offset:         56
        .size:           4
        .value_kind:     by_value
      - .offset:         60
        .size:           1
        .value_kind:     by_value
    .group_segment_fixed_size: 3072
    .kernarg_segment_align: 8
    .kernarg_segment_size: 64
    .language:       OpenCL C
    .language_version:
      - 2
      - 0
    .max_flat_workgroup_size: 256
    .name:           _ZN9rocsparseL19coomvn_atomic_loopsILj256ELj1El18rocsparse_bfloat16S1_ffEEvlNS_24const_host_device_scalarIT5_EEPKT1_S7_PKT2_PKT3_PT4_21rocsparse_index_base_b
    .private_segment_fixed_size: 0
    .sgpr_count:     22
    .sgpr_spill_count: 0
    .symbol:         _ZN9rocsparseL19coomvn_atomic_loopsILj256ELj1El18rocsparse_bfloat16S1_ffEEvlNS_24const_host_device_scalarIT5_EEPKT1_S7_PKT2_PKT3_PT4_21rocsparse_index_base_b.kd
    .uniform_work_group_size: 1
    .uses_dynamic_stack: false
    .vgpr_count:     10
    .vgpr_spill_count: 0
    .wavefront_size: 64
  - .args:
      - .offset:         0
        .size:           8
        .value_kind:     by_value
      - .offset:         8
        .size:           8
        .value_kind:     by_value
      - .actual_access:  read_only
        .address_space:  global
        .offset:         16
        .size:           8
        .value_kind:     global_buffer
      - .actual_access:  read_only
        .address_space:  global
        .offset:         24
        .size:           8
        .value_kind:     global_buffer
      - .actual_access:  read_only
        .address_space:  global
        .offset:         32
        .size:           8
        .value_kind:     global_buffer
      - .actual_access:  read_only
        .address_space:  global
        .offset:         40
        .size:           8
        .value_kind:     global_buffer
      - .address_space:  global
        .offset:         48
        .size:           8
        .value_kind:     global_buffer
      - .offset:         56
        .size:           4
        .value_kind:     by_value
      - .offset:         60
        .size:           1
        .value_kind:     by_value
    .group_segment_fixed_size: 3072
    .kernarg_segment_align: 8
    .kernarg_segment_size: 64
    .language:       OpenCL C
    .language_version:
      - 2
      - 0
    .max_flat_workgroup_size: 256
    .name:           _ZN9rocsparseL19coomvn_atomic_loopsILj256ELj2El18rocsparse_bfloat16S1_ffEEvlNS_24const_host_device_scalarIT5_EEPKT1_S7_PKT2_PKT3_PT4_21rocsparse_index_base_b
    .private_segment_fixed_size: 0
    .sgpr_count:     46
    .sgpr_spill_count: 0
    .symbol:         _ZN9rocsparseL19coomvn_atomic_loopsILj256ELj2El18rocsparse_bfloat16S1_ffEEvlNS_24const_host_device_scalarIT5_EEPKT1_S7_PKT2_PKT3_PT4_21rocsparse_index_base_b.kd
    .uniform_work_group_size: 1
    .uses_dynamic_stack: false
    .vgpr_count:     17
    .vgpr_spill_count: 0
    .wavefront_size: 64
  - .args:
      - .offset:         0
        .size:           8
        .value_kind:     by_value
      - .offset:         8
        .size:           4
        .value_kind:     by_value
      - .offset:         16
        .size:           8
        .value_kind:     by_value
      - .actual_access:  read_only
        .address_space:  global
        .offset:         24
        .size:           8
        .value_kind:     global_buffer
      - .actual_access:  read_only
        .address_space:  global
        .offset:         32
        .size:           8
        .value_kind:     global_buffer
      - .actual_access:  read_only
        .address_space:  global
        .offset:         40
        .size:           8
        .value_kind:     global_buffer
      - .actual_access:  read_only
        .address_space:  global
        .offset:         48
        .size:           8
        .value_kind:     global_buffer
      - .address_space:  global
        .offset:         56
        .size:           8
        .value_kind:     global_buffer
      - .actual_access:  write_only
        .address_space:  global
        .offset:         64
        .size:           8
        .value_kind:     global_buffer
      - .actual_access:  write_only
        .address_space:  global
        .offset:         72
        .size:           8
        .value_kind:     global_buffer
      - .offset:         80
        .size:           4
        .value_kind:     by_value
      - .offset:         84
        .size:           1
        .value_kind:     by_value
    .group_segment_fixed_size: 3072
    .kernarg_segment_align: 8
    .kernarg_segment_size: 88
    .language:       OpenCL C
    .language_version:
      - 2
      - 0
    .max_flat_workgroup_size: 256
    .name:           _ZN9rocsparseL22coomvn_segmented_loopsILj256Eif21rocsparse_complex_numIfES2_S2_EEvlT0_NS_24const_host_device_scalarIT4_EEPKS3_S8_PKT1_PKT2_PT3_PS3_PS5_21rocsparse_index_base_b
    .private_segment_fixed_size: 0
    .sgpr_count:     48
    .sgpr_spill_count: 0
    .symbol:         _ZN9rocsparseL22coomvn_segmented_loopsILj256Eif21rocsparse_complex_numIfES2_S2_EEvlT0_NS_24const_host_device_scalarIT4_EEPKS3_S8_PKT1_PKT2_PT3_PS3_PS5_21rocsparse_index_base_b.kd
    .uniform_work_group_size: 1
    .uses_dynamic_stack: false
    .vgpr_count:     35
    .vgpr_spill_count: 0
    .wavefront_size: 64
  - .args:
      - .offset:         0
        .size:           4
        .value_kind:     by_value
      - .offset:         8
        .size:           8
        .value_kind:     by_value
      - .offset:         16
        .size:           8
        .value_kind:     by_value
      - .actual_access:  read_only
        .address_space:  global
        .offset:         24
        .size:           8
        .value_kind:     global_buffer
      - .actual_access:  read_only
        .address_space:  global
        .offset:         32
        .size:           8
        .value_kind:     global_buffer
      - .actual_access:  read_only
        .address_space:  global
        .offset:         40
        .size:           8
        .value_kind:     global_buffer
      - .actual_access:  read_only
        .address_space:  global
        .offset:         48
        .size:           8
        .value_kind:     global_buffer
      - .address_space:  global
        .offset:         56
        .size:           8
        .value_kind:     global_buffer
      - .offset:         64
        .size:           4
        .value_kind:     by_value
      - .offset:         68
        .size:           1
        .value_kind:     by_value
      - .offset:         72
        .size:           4
        .value_kind:     hidden_block_count_x
      - .offset:         76
        .size:           4
        .value_kind:     hidden_block_count_y
      - .offset:         80
        .size:           4
        .value_kind:     hidden_block_count_z
      - .offset:         84
        .size:           2
        .value_kind:     hidden_group_size_x
      - .offset:         86
        .size:           2
        .value_kind:     hidden_group_size_y
      - .offset:         88
        .size:           2
        .value_kind:     hidden_group_size_z
      - .offset:         90
        .size:           2
        .value_kind:     hidden_remainder_x
      - .offset:         92
        .size:           2
        .value_kind:     hidden_remainder_y
      - .offset:         94
        .size:           2
        .value_kind:     hidden_remainder_z
      - .offset:         112
        .size:           8
        .value_kind:     hidden_global_offset_x
      - .offset:         120
        .size:           8
        .value_kind:     hidden_global_offset_y
      - .offset:         128
        .size:           8
        .value_kind:     hidden_global_offset_z
      - .offset:         136
        .size:           2
        .value_kind:     hidden_grid_dims
    .group_segment_fixed_size: 0
    .kernarg_segment_align: 8
    .kernarg_segment_size: 328
    .language:       OpenCL C
    .language_version:
      - 2
      - 0
    .max_flat_workgroup_size: 1024
    .name:           _ZN9rocsparseL13coomvt_kernelILj1024Eif21rocsparse_complex_numIfES2_S2_EEv20rocsparse_operation_lNS_24const_host_device_scalarIT4_EEPKT0_S9_PKT1_PKT2_PT3_21rocsparse_index_base_b
    .private_segment_fixed_size: 0
    .sgpr_count:     20
    .sgpr_spill_count: 0
    .symbol:         _ZN9rocsparseL13coomvt_kernelILj1024Eif21rocsparse_complex_numIfES2_S2_EEv20rocsparse_operation_lNS_24const_host_device_scalarIT4_EEPKT0_S9_PKT1_PKT2_PT3_21rocsparse_index_base_b.kd
    .uniform_work_group_size: 1
    .uses_dynamic_stack: false
    .vgpr_count:     12
    .vgpr_spill_count: 0
    .wavefront_size: 64
  - .args:
      - .offset:         0
        .size:           8
        .value_kind:     by_value
      - .offset:         8
        .size:           8
        .value_kind:     by_value
      - .actual_access:  read_only
        .address_space:  global
        .offset:         16
        .size:           8
        .value_kind:     global_buffer
      - .actual_access:  read_only
        .address_space:  global
        .offset:         24
        .size:           8
        .value_kind:     global_buffer
      - .actual_access:  read_only
        .address_space:  global
        .offset:         32
        .size:           8
        .value_kind:     global_buffer
      - .actual_access:  read_only
        .address_space:  global
        .offset:         40
        .size:           8
        .value_kind:     global_buffer
      - .address_space:  global
        .offset:         48
        .size:           8
        .value_kind:     global_buffer
      - .offset:         56
        .size:           4
        .value_kind:     by_value
      - .offset:         60
        .size:           1
        .value_kind:     by_value
    .group_segment_fixed_size: 3072
    .kernarg_segment_align: 8
    .kernarg_segment_size: 64
    .language:       OpenCL C
    .language_version:
      - 2
      - 0
    .max_flat_workgroup_size: 256
    .name:           _ZN9rocsparseL19coomvn_atomic_loopsILj256ELj1Eif21rocsparse_complex_numIfES2_S2_EEvlNS_24const_host_device_scalarIT5_EEPKT1_S8_PKT2_PKT3_PT4_21rocsparse_index_base_b
    .private_segment_fixed_size: 0
    .sgpr_count:     20
    .sgpr_spill_count: 0
    .symbol:         _ZN9rocsparseL19coomvn_atomic_loopsILj256ELj1Eif21rocsparse_complex_numIfES2_S2_EEvlNS_24const_host_device_scalarIT5_EEPKT1_S8_PKT2_PKT3_PT4_21rocsparse_index_base_b.kd
    .uniform_work_group_size: 1
    .uses_dynamic_stack: false
    .vgpr_count:     11
    .vgpr_spill_count: 0
    .wavefront_size: 64
  - .args:
      - .offset:         0
        .size:           8
        .value_kind:     by_value
      - .offset:         8
        .size:           8
        .value_kind:     by_value
      - .actual_access:  read_only
        .address_space:  global
        .offset:         16
        .size:           8
        .value_kind:     global_buffer
      - .actual_access:  read_only
        .address_space:  global
        .offset:         24
        .size:           8
        .value_kind:     global_buffer
      - .actual_access:  read_only
        .address_space:  global
        .offset:         32
        .size:           8
        .value_kind:     global_buffer
      - .actual_access:  read_only
        .address_space:  global
        .offset:         40
        .size:           8
        .value_kind:     global_buffer
      - .address_space:  global
        .offset:         48
        .size:           8
        .value_kind:     global_buffer
      - .offset:         56
        .size:           4
        .value_kind:     by_value
      - .offset:         60
        .size:           1
        .value_kind:     by_value
    .group_segment_fixed_size: 3072
    .kernarg_segment_align: 8
    .kernarg_segment_size: 64
    .language:       OpenCL C
    .language_version:
      - 2
      - 0
    .max_flat_workgroup_size: 256
    .name:           _ZN9rocsparseL19coomvn_atomic_loopsILj256ELj2Eif21rocsparse_complex_numIfES2_S2_EEvlNS_24const_host_device_scalarIT5_EEPKT1_S8_PKT2_PKT3_PT4_21rocsparse_index_base_b
    .private_segment_fixed_size: 0
    .sgpr_count:     44
    .sgpr_spill_count: 0
    .symbol:         _ZN9rocsparseL19coomvn_atomic_loopsILj256ELj2Eif21rocsparse_complex_numIfES2_S2_EEvlNS_24const_host_device_scalarIT5_EEPKT1_S8_PKT2_PKT3_PT4_21rocsparse_index_base_b.kd
    .uniform_work_group_size: 1
    .uses_dynamic_stack: false
    .vgpr_count:     20
    .vgpr_spill_count: 0
    .wavefront_size: 64
  - .args:
      - .offset:         0
        .size:           8
        .value_kind:     by_value
      - .offset:         8
        .size:           8
        .value_kind:     by_value
      - .offset:         16
        .size:           8
        .value_kind:     by_value
      - .actual_access:  read_only
        .address_space:  global
        .offset:         24
        .size:           8
        .value_kind:     global_buffer
      - .actual_access:  read_only
        .address_space:  global
        .offset:         32
        .size:           8
        .value_kind:     global_buffer
      - .actual_access:  read_only
        .address_space:  global
        .offset:         40
        .size:           8
        .value_kind:     global_buffer
      - .actual_access:  read_only
        .address_space:  global
        .offset:         48
        .size:           8
        .value_kind:     global_buffer
      - .address_space:  global
        .offset:         56
        .size:           8
        .value_kind:     global_buffer
      - .actual_access:  write_only
        .address_space:  global
        .offset:         64
        .size:           8
        .value_kind:     global_buffer
      - .actual_access:  write_only
        .address_space:  global
        .offset:         72
        .size:           8
        .value_kind:     global_buffer
      - .offset:         80
        .size:           4
        .value_kind:     by_value
      - .offset:         84
        .size:           1
        .value_kind:     by_value
    .group_segment_fixed_size: 4096
    .kernarg_segment_align: 8
    .kernarg_segment_size: 88
    .language:       OpenCL C
    .language_version:
      - 2
      - 0
    .max_flat_workgroup_size: 256
    .name:           _ZN9rocsparseL22coomvn_segmented_loopsILj256Elf21rocsparse_complex_numIfES2_S2_EEvlT0_NS_24const_host_device_scalarIT4_EEPKS3_S8_PKT1_PKT2_PT3_PS3_PS5_21rocsparse_index_base_b
    .private_segment_fixed_size: 0
    .sgpr_count:     52
    .sgpr_spill_count: 0
    .symbol:         _ZN9rocsparseL22coomvn_segmented_loopsILj256Elf21rocsparse_complex_numIfES2_S2_EEvlT0_NS_24const_host_device_scalarIT4_EEPKS3_S8_PKT1_PKT2_PT3_PS3_PS5_21rocsparse_index_base_b.kd
    .uniform_work_group_size: 1
    .uses_dynamic_stack: false
    .vgpr_count:     39
    .vgpr_spill_count: 0
    .wavefront_size: 64
  - .args:
      - .offset:         0
        .size:           4
        .value_kind:     by_value
      - .offset:         8
        .size:           8
        .value_kind:     by_value
      - .offset:         16
        .size:           8
        .value_kind:     by_value
      - .actual_access:  read_only
        .address_space:  global
        .offset:         24
        .size:           8
        .value_kind:     global_buffer
      - .actual_access:  read_only
        .address_space:  global
        .offset:         32
        .size:           8
        .value_kind:     global_buffer
      - .actual_access:  read_only
        .address_space:  global
        .offset:         40
        .size:           8
        .value_kind:     global_buffer
      - .actual_access:  read_only
        .address_space:  global
        .offset:         48
        .size:           8
        .value_kind:     global_buffer
      - .address_space:  global
        .offset:         56
        .size:           8
        .value_kind:     global_buffer
      - .offset:         64
        .size:           4
        .value_kind:     by_value
      - .offset:         68
        .size:           1
        .value_kind:     by_value
      - .offset:         72
        .size:           4
        .value_kind:     hidden_block_count_x
      - .offset:         76
        .size:           4
        .value_kind:     hidden_block_count_y
      - .offset:         80
        .size:           4
        .value_kind:     hidden_block_count_z
      - .offset:         84
        .size:           2
        .value_kind:     hidden_group_size_x
      - .offset:         86
        .size:           2
        .value_kind:     hidden_group_size_y
      - .offset:         88
        .size:           2
        .value_kind:     hidden_group_size_z
      - .offset:         90
        .size:           2
        .value_kind:     hidden_remainder_x
      - .offset:         92
        .size:           2
        .value_kind:     hidden_remainder_y
      - .offset:         94
        .size:           2
        .value_kind:     hidden_remainder_z
      - .offset:         112
        .size:           8
        .value_kind:     hidden_global_offset_x
      - .offset:         120
        .size:           8
        .value_kind:     hidden_global_offset_y
      - .offset:         128
        .size:           8
        .value_kind:     hidden_global_offset_z
      - .offset:         136
        .size:           2
        .value_kind:     hidden_grid_dims
    .group_segment_fixed_size: 0
    .kernarg_segment_align: 8
    .kernarg_segment_size: 328
    .language:       OpenCL C
    .language_version:
      - 2
      - 0
    .max_flat_workgroup_size: 1024
    .name:           _ZN9rocsparseL13coomvt_kernelILj1024Elf21rocsparse_complex_numIfES2_S2_EEv20rocsparse_operation_lNS_24const_host_device_scalarIT4_EEPKT0_S9_PKT1_PKT2_PT3_21rocsparse_index_base_b
    .private_segment_fixed_size: 0
    .sgpr_count:     20
    .sgpr_spill_count: 0
    .symbol:         _ZN9rocsparseL13coomvt_kernelILj1024Elf21rocsparse_complex_numIfES2_S2_EEv20rocsparse_operation_lNS_24const_host_device_scalarIT4_EEPKT0_S9_PKT1_PKT2_PT3_21rocsparse_index_base_b.kd
    .uniform_work_group_size: 1
    .uses_dynamic_stack: false
    .vgpr_count:     12
    .vgpr_spill_count: 0
    .wavefront_size: 64
  - .args:
      - .offset:         0
        .size:           8
        .value_kind:     by_value
      - .offset:         8
        .size:           8
        .value_kind:     by_value
      - .actual_access:  read_only
        .address_space:  global
        .offset:         16
        .size:           8
        .value_kind:     global_buffer
      - .actual_access:  read_only
        .address_space:  global
        .offset:         24
        .size:           8
        .value_kind:     global_buffer
      - .actual_access:  read_only
        .address_space:  global
        .offset:         32
        .size:           8
        .value_kind:     global_buffer
      - .actual_access:  read_only
        .address_space:  global
        .offset:         40
        .size:           8
        .value_kind:     global_buffer
      - .address_space:  global
        .offset:         48
        .size:           8
        .value_kind:     global_buffer
      - .offset:         56
        .size:           4
        .value_kind:     by_value
      - .offset:         60
        .size:           1
        .value_kind:     by_value
    .group_segment_fixed_size: 4096
    .kernarg_segment_align: 8
    .kernarg_segment_size: 64
    .language:       OpenCL C
    .language_version:
      - 2
      - 0
    .max_flat_workgroup_size: 256
    .name:           _ZN9rocsparseL19coomvn_atomic_loopsILj256ELj1Elf21rocsparse_complex_numIfES2_S2_EEvlNS_24const_host_device_scalarIT5_EEPKT1_S8_PKT2_PKT3_PT4_21rocsparse_index_base_b
    .private_segment_fixed_size: 0
    .sgpr_count:     20
    .sgpr_spill_count: 0
    .symbol:         _ZN9rocsparseL19coomvn_atomic_loopsILj256ELj1Elf21rocsparse_complex_numIfES2_S2_EEvlNS_24const_host_device_scalarIT5_EEPKT1_S8_PKT2_PKT3_PT4_21rocsparse_index_base_b.kd
    .uniform_work_group_size: 1
    .uses_dynamic_stack: false
    .vgpr_count:     12
    .vgpr_spill_count: 0
    .wavefront_size: 64
  - .args:
      - .offset:         0
        .size:           8
        .value_kind:     by_value
      - .offset:         8
        .size:           8
        .value_kind:     by_value
      - .actual_access:  read_only
        .address_space:  global
        .offset:         16
        .size:           8
        .value_kind:     global_buffer
      - .actual_access:  read_only
        .address_space:  global
        .offset:         24
        .size:           8
        .value_kind:     global_buffer
      - .actual_access:  read_only
        .address_space:  global
        .offset:         32
        .size:           8
        .value_kind:     global_buffer
      - .actual_access:  read_only
        .address_space:  global
        .offset:         40
        .size:           8
        .value_kind:     global_buffer
      - .address_space:  global
        .offset:         48
        .size:           8
        .value_kind:     global_buffer
      - .offset:         56
        .size:           4
        .value_kind:     by_value
      - .offset:         60
        .size:           1
        .value_kind:     by_value
    .group_segment_fixed_size: 4096
    .kernarg_segment_align: 8
    .kernarg_segment_size: 64
    .language:       OpenCL C
    .language_version:
      - 2
      - 0
    .max_flat_workgroup_size: 256
    .name:           _ZN9rocsparseL19coomvn_atomic_loopsILj256ELj2Elf21rocsparse_complex_numIfES2_S2_EEvlNS_24const_host_device_scalarIT5_EEPKT1_S8_PKT2_PKT3_PT4_21rocsparse_index_base_b
    .private_segment_fixed_size: 0
    .sgpr_count:     44
    .sgpr_spill_count: 0
    .symbol:         _ZN9rocsparseL19coomvn_atomic_loopsILj256ELj2Elf21rocsparse_complex_numIfES2_S2_EEvlNS_24const_host_device_scalarIT5_EEPKT1_S8_PKT2_PKT3_PT4_21rocsparse_index_base_b.kd
    .uniform_work_group_size: 1
    .uses_dynamic_stack: false
    .vgpr_count:     21
    .vgpr_spill_count: 0
    .wavefront_size: 64
  - .args:
      - .offset:         0
        .size:           8
        .value_kind:     by_value
      - .offset:         8
        .size:           4
        .value_kind:     by_value
      - .offset:         16
        .size:           16
        .value_kind:     by_value
      - .actual_access:  read_only
        .address_space:  global
        .offset:         32
        .size:           8
        .value_kind:     global_buffer
      - .actual_access:  read_only
        .address_space:  global
        .offset:         40
        .size:           8
        .value_kind:     global_buffer
      - .actual_access:  read_only
        .address_space:  global
        .offset:         48
        .size:           8
        .value_kind:     global_buffer
      - .actual_access:  read_only
        .address_space:  global
        .offset:         56
        .size:           8
        .value_kind:     global_buffer
      - .address_space:  global
        .offset:         64
        .size:           8
        .value_kind:     global_buffer
      - .actual_access:  write_only
        .address_space:  global
        .offset:         72
        .size:           8
        .value_kind:     global_buffer
      - .actual_access:  write_only
        .address_space:  global
        .offset:         80
        .size:           8
        .value_kind:     global_buffer
      - .offset:         88
        .size:           4
        .value_kind:     by_value
      - .offset:         92
        .size:           1
        .value_kind:     by_value
    .group_segment_fixed_size: 5120
    .kernarg_segment_align: 8
    .kernarg_segment_size: 96
    .language:       OpenCL C
    .language_version:
      - 2
      - 0
    .max_flat_workgroup_size: 256
    .name:           _ZN9rocsparseL22coomvn_segmented_loopsILj256Eid21rocsparse_complex_numIdES2_S2_EEvlT0_NS_24const_host_device_scalarIT4_EEPKS3_S8_PKT1_PKT2_PT3_PS3_PS5_21rocsparse_index_base_b
    .private_segment_fixed_size: 0
    .sgpr_count:     48
    .sgpr_spill_count: 0
    .symbol:         _ZN9rocsparseL22coomvn_segmented_loopsILj256Eid21rocsparse_complex_numIdES2_S2_EEvlT0_NS_24const_host_device_scalarIT4_EEPKS3_S8_PKT1_PKT2_PT3_PS3_PS5_21rocsparse_index_base_b.kd
    .uniform_work_group_size: 1
    .uses_dynamic_stack: false
    .vgpr_count:     38
    .vgpr_spill_count: 0
    .wavefront_size: 64
  - .args:
      - .offset:         0
        .size:           4
        .value_kind:     by_value
      - .offset:         8
        .size:           8
        .value_kind:     by_value
      - .offset:         16
        .size:           16
        .value_kind:     by_value
      - .actual_access:  read_only
        .address_space:  global
        .offset:         32
        .size:           8
        .value_kind:     global_buffer
      - .actual_access:  read_only
        .address_space:  global
        .offset:         40
        .size:           8
        .value_kind:     global_buffer
      - .actual_access:  read_only
        .address_space:  global
        .offset:         48
        .size:           8
        .value_kind:     global_buffer
      - .actual_access:  read_only
        .address_space:  global
        .offset:         56
        .size:           8
        .value_kind:     global_buffer
      - .address_space:  global
        .offset:         64
        .size:           8
        .value_kind:     global_buffer
      - .offset:         72
        .size:           4
        .value_kind:     by_value
      - .offset:         76
        .size:           1
        .value_kind:     by_value
      - .offset:         80
        .size:           4
        .value_kind:     hidden_block_count_x
      - .offset:         84
        .size:           4
        .value_kind:     hidden_block_count_y
      - .offset:         88
        .size:           4
        .value_kind:     hidden_block_count_z
      - .offset:         92
        .size:           2
        .value_kind:     hidden_group_size_x
      - .offset:         94
        .size:           2
        .value_kind:     hidden_group_size_y
      - .offset:         96
        .size:           2
        .value_kind:     hidden_group_size_z
      - .offset:         98
        .size:           2
        .value_kind:     hidden_remainder_x
      - .offset:         100
        .size:           2
        .value_kind:     hidden_remainder_y
      - .offset:         102
        .size:           2
        .value_kind:     hidden_remainder_z
      - .offset:         120
        .size:           8
        .value_kind:     hidden_global_offset_x
      - .offset:         128
        .size:           8
        .value_kind:     hidden_global_offset_y
      - .offset:         136
        .size:           8
        .value_kind:     hidden_global_offset_z
      - .offset:         144
        .size:           2
        .value_kind:     hidden_grid_dims
    .group_segment_fixed_size: 0
    .kernarg_segment_align: 8
    .kernarg_segment_size: 336
    .language:       OpenCL C
    .language_version:
      - 2
      - 0
    .max_flat_workgroup_size: 1024
    .name:           _ZN9rocsparseL13coomvt_kernelILj1024Eid21rocsparse_complex_numIdES2_S2_EEv20rocsparse_operation_lNS_24const_host_device_scalarIT4_EEPKT0_S9_PKT1_PKT2_PT3_21rocsparse_index_base_b
    .private_segment_fixed_size: 0
    .sgpr_count:     20
    .sgpr_spill_count: 0
    .symbol:         _ZN9rocsparseL13coomvt_kernelILj1024Eid21rocsparse_complex_numIdES2_S2_EEv20rocsparse_operation_lNS_24const_host_device_scalarIT4_EEPKT0_S9_PKT1_PKT2_PT3_21rocsparse_index_base_b.kd
    .uniform_work_group_size: 1
    .uses_dynamic_stack: false
    .vgpr_count:     19
    .vgpr_spill_count: 0
    .wavefront_size: 64
  - .args:
      - .offset:         0
        .size:           8
        .value_kind:     by_value
      - .offset:         8
        .size:           16
        .value_kind:     by_value
      - .actual_access:  read_only
        .address_space:  global
        .offset:         24
        .size:           8
        .value_kind:     global_buffer
      - .actual_access:  read_only
        .address_space:  global
        .offset:         32
        .size:           8
        .value_kind:     global_buffer
      - .actual_access:  read_only
        .address_space:  global
        .offset:         40
        .size:           8
        .value_kind:     global_buffer
      - .actual_access:  read_only
        .address_space:  global
        .offset:         48
        .size:           8
        .value_kind:     global_buffer
      - .address_space:  global
        .offset:         56
        .size:           8
        .value_kind:     global_buffer
      - .offset:         64
        .size:           4
        .value_kind:     by_value
      - .offset:         68
        .size:           1
        .value_kind:     by_value
    .group_segment_fixed_size: 5120
    .kernarg_segment_align: 8
    .kernarg_segment_size: 72
    .language:       OpenCL C
    .language_version:
      - 2
      - 0
    .max_flat_workgroup_size: 256
    .name:           _ZN9rocsparseL19coomvn_atomic_loopsILj256ELj1Eid21rocsparse_complex_numIdES2_S2_EEvlNS_24const_host_device_scalarIT5_EEPKT1_S8_PKT2_PKT3_PT4_21rocsparse_index_base_b
    .private_segment_fixed_size: 0
    .sgpr_count:     20
    .sgpr_spill_count: 0
    .symbol:         _ZN9rocsparseL19coomvn_atomic_loopsILj256ELj1Eid21rocsparse_complex_numIdES2_S2_EEvlNS_24const_host_device_scalarIT5_EEPKT1_S8_PKT2_PKT3_PT4_21rocsparse_index_base_b.kd
    .uniform_work_group_size: 1
    .uses_dynamic_stack: false
    .vgpr_count:     18
    .vgpr_spill_count: 0
    .wavefront_size: 64
  - .args:
      - .offset:         0
        .size:           8
        .value_kind:     by_value
      - .offset:         8
        .size:           16
        .value_kind:     by_value
      - .actual_access:  read_only
        .address_space:  global
        .offset:         24
        .size:           8
        .value_kind:     global_buffer
      - .actual_access:  read_only
        .address_space:  global
        .offset:         32
        .size:           8
        .value_kind:     global_buffer
      - .actual_access:  read_only
        .address_space:  global
        .offset:         40
        .size:           8
        .value_kind:     global_buffer
      - .actual_access:  read_only
        .address_space:  global
        .offset:         48
        .size:           8
        .value_kind:     global_buffer
      - .address_space:  global
        .offset:         56
        .size:           8
        .value_kind:     global_buffer
      - .offset:         64
        .size:           4
        .value_kind:     by_value
      - .offset:         68
        .size:           1
        .value_kind:     by_value
    .group_segment_fixed_size: 5120
    .kernarg_segment_align: 8
    .kernarg_segment_size: 72
    .language:       OpenCL C
    .language_version:
      - 2
      - 0
    .max_flat_workgroup_size: 256
    .name:           _ZN9rocsparseL19coomvn_atomic_loopsILj256ELj2Eid21rocsparse_complex_numIdES2_S2_EEvlNS_24const_host_device_scalarIT5_EEPKT1_S8_PKT2_PKT3_PT4_21rocsparse_index_base_b
    .private_segment_fixed_size: 0
    .sgpr_count:     44
    .sgpr_spill_count: 0
    .symbol:         _ZN9rocsparseL19coomvn_atomic_loopsILj256ELj2Eid21rocsparse_complex_numIdES2_S2_EEvlNS_24const_host_device_scalarIT5_EEPKT1_S8_PKT2_PKT3_PT4_21rocsparse_index_base_b.kd
    .uniform_work_group_size: 1
    .uses_dynamic_stack: false
    .vgpr_count:     29
    .vgpr_spill_count: 0
    .wavefront_size: 64
  - .args:
      - .offset:         0
        .size:           8
        .value_kind:     by_value
      - .offset:         8
        .size:           8
        .value_kind:     by_value
      - .offset:         16
        .size:           16
        .value_kind:     by_value
      - .actual_access:  read_only
        .address_space:  global
        .offset:         32
        .size:           8
        .value_kind:     global_buffer
      - .actual_access:  read_only
        .address_space:  global
        .offset:         40
        .size:           8
        .value_kind:     global_buffer
      - .actual_access:  read_only
        .address_space:  global
        .offset:         48
        .size:           8
        .value_kind:     global_buffer
      - .actual_access:  read_only
        .address_space:  global
        .offset:         56
        .size:           8
        .value_kind:     global_buffer
      - .address_space:  global
        .offset:         64
        .size:           8
        .value_kind:     global_buffer
      - .actual_access:  write_only
        .address_space:  global
        .offset:         72
        .size:           8
        .value_kind:     global_buffer
      - .actual_access:  write_only
        .address_space:  global
        .offset:         80
        .size:           8
        .value_kind:     global_buffer
      - .offset:         88
        .size:           4
        .value_kind:     by_value
      - .offset:         92
        .size:           1
        .value_kind:     by_value
    .group_segment_fixed_size: 6144
    .kernarg_segment_align: 8
    .kernarg_segment_size: 96
    .language:       OpenCL C
    .language_version:
      - 2
      - 0
    .max_flat_workgroup_size: 256
    .name:           _ZN9rocsparseL22coomvn_segmented_loopsILj256Eld21rocsparse_complex_numIdES2_S2_EEvlT0_NS_24const_host_device_scalarIT4_EEPKS3_S8_PKT1_PKT2_PT3_PS3_PS5_21rocsparse_index_base_b
    .private_segment_fixed_size: 0
    .sgpr_count:     52
    .sgpr_spill_count: 0
    .symbol:         _ZN9rocsparseL22coomvn_segmented_loopsILj256Eld21rocsparse_complex_numIdES2_S2_EEvlT0_NS_24const_host_device_scalarIT4_EEPKS3_S8_PKT1_PKT2_PT3_PS3_PS5_21rocsparse_index_base_b.kd
    .uniform_work_group_size: 1
    .uses_dynamic_stack: false
    .vgpr_count:     46
    .vgpr_spill_count: 0
    .wavefront_size: 64
  - .args:
      - .offset:         0
        .size:           4
        .value_kind:     by_value
      - .offset:         8
        .size:           8
        .value_kind:     by_value
      - .offset:         16
        .size:           16
        .value_kind:     by_value
      - .actual_access:  read_only
        .address_space:  global
        .offset:         32
        .size:           8
        .value_kind:     global_buffer
      - .actual_access:  read_only
        .address_space:  global
        .offset:         40
        .size:           8
        .value_kind:     global_buffer
      - .actual_access:  read_only
        .address_space:  global
        .offset:         48
        .size:           8
        .value_kind:     global_buffer
      - .actual_access:  read_only
        .address_space:  global
        .offset:         56
        .size:           8
        .value_kind:     global_buffer
      - .address_space:  global
        .offset:         64
        .size:           8
        .value_kind:     global_buffer
      - .offset:         72
        .size:           4
        .value_kind:     by_value
      - .offset:         76
        .size:           1
        .value_kind:     by_value
      - .offset:         80
        .size:           4
        .value_kind:     hidden_block_count_x
      - .offset:         84
        .size:           4
        .value_kind:     hidden_block_count_y
      - .offset:         88
        .size:           4
        .value_kind:     hidden_block_count_z
      - .offset:         92
        .size:           2
        .value_kind:     hidden_group_size_x
      - .offset:         94
        .size:           2
        .value_kind:     hidden_group_size_y
      - .offset:         96
        .size:           2
        .value_kind:     hidden_group_size_z
      - .offset:         98
        .size:           2
        .value_kind:     hidden_remainder_x
      - .offset:         100
        .size:           2
        .value_kind:     hidden_remainder_y
      - .offset:         102
        .size:           2
        .value_kind:     hidden_remainder_z
      - .offset:         120
        .size:           8
        .value_kind:     hidden_global_offset_x
      - .offset:         128
        .size:           8
        .value_kind:     hidden_global_offset_y
      - .offset:         136
        .size:           8
        .value_kind:     hidden_global_offset_z
      - .offset:         144
        .size:           2
        .value_kind:     hidden_grid_dims
    .group_segment_fixed_size: 0
    .kernarg_segment_align: 8
    .kernarg_segment_size: 336
    .language:       OpenCL C
    .language_version:
      - 2
      - 0
    .max_flat_workgroup_size: 1024
    .name:           _ZN9rocsparseL13coomvt_kernelILj1024Eld21rocsparse_complex_numIdES2_S2_EEv20rocsparse_operation_lNS_24const_host_device_scalarIT4_EEPKT0_S9_PKT1_PKT2_PT3_21rocsparse_index_base_b
    .private_segment_fixed_size: 0
    .sgpr_count:     20
    .sgpr_spill_count: 0
    .symbol:         _ZN9rocsparseL13coomvt_kernelILj1024Eld21rocsparse_complex_numIdES2_S2_EEv20rocsparse_operation_lNS_24const_host_device_scalarIT4_EEPKT0_S9_PKT1_PKT2_PT3_21rocsparse_index_base_b.kd
    .uniform_work_group_size: 1
    .uses_dynamic_stack: false
    .vgpr_count:     21
    .vgpr_spill_count: 0
    .wavefront_size: 64
  - .args:
      - .offset:         0
        .size:           8
        .value_kind:     by_value
      - .offset:         8
        .size:           16
        .value_kind:     by_value
      - .actual_access:  read_only
        .address_space:  global
        .offset:         24
        .size:           8
        .value_kind:     global_buffer
      - .actual_access:  read_only
        .address_space:  global
        .offset:         32
        .size:           8
        .value_kind:     global_buffer
      - .actual_access:  read_only
        .address_space:  global
        .offset:         40
        .size:           8
        .value_kind:     global_buffer
      - .actual_access:  read_only
        .address_space:  global
        .offset:         48
        .size:           8
        .value_kind:     global_buffer
      - .address_space:  global
        .offset:         56
        .size:           8
        .value_kind:     global_buffer
      - .offset:         64
        .size:           4
        .value_kind:     by_value
      - .offset:         68
        .size:           1
        .value_kind:     by_value
    .group_segment_fixed_size: 6144
    .kernarg_segment_align: 8
    .kernarg_segment_size: 72
    .language:       OpenCL C
    .language_version:
      - 2
      - 0
    .max_flat_workgroup_size: 256
    .name:           _ZN9rocsparseL19coomvn_atomic_loopsILj256ELj1Eld21rocsparse_complex_numIdES2_S2_EEvlNS_24const_host_device_scalarIT5_EEPKT1_S8_PKT2_PKT3_PT4_21rocsparse_index_base_b
    .private_segment_fixed_size: 0
    .sgpr_count:     20
    .sgpr_spill_count: 0
    .symbol:         _ZN9rocsparseL19coomvn_atomic_loopsILj256ELj1Eld21rocsparse_complex_numIdES2_S2_EEvlNS_24const_host_device_scalarIT5_EEPKT1_S8_PKT2_PKT3_PT4_21rocsparse_index_base_b.kd
    .uniform_work_group_size: 1
    .uses_dynamic_stack: false
    .vgpr_count:     19
    .vgpr_spill_count: 0
    .wavefront_size: 64
  - .args:
      - .offset:         0
        .size:           8
        .value_kind:     by_value
      - .offset:         8
        .size:           16
        .value_kind:     by_value
      - .actual_access:  read_only
        .address_space:  global
        .offset:         24
        .size:           8
        .value_kind:     global_buffer
      - .actual_access:  read_only
        .address_space:  global
        .offset:         32
        .size:           8
        .value_kind:     global_buffer
      - .actual_access:  read_only
        .address_space:  global
        .offset:         40
        .size:           8
        .value_kind:     global_buffer
      - .actual_access:  read_only
        .address_space:  global
        .offset:         48
        .size:           8
        .value_kind:     global_buffer
      - .address_space:  global
        .offset:         56
        .size:           8
        .value_kind:     global_buffer
      - .offset:         64
        .size:           4
        .value_kind:     by_value
      - .offset:         68
        .size:           1
        .value_kind:     by_value
    .group_segment_fixed_size: 6144
    .kernarg_segment_align: 8
    .kernarg_segment_size: 72
    .language:       OpenCL C
    .language_version:
      - 2
      - 0
    .max_flat_workgroup_size: 256
    .name:           _ZN9rocsparseL19coomvn_atomic_loopsILj256ELj2Eld21rocsparse_complex_numIdES2_S2_EEvlNS_24const_host_device_scalarIT5_EEPKT1_S8_PKT2_PKT3_PT4_21rocsparse_index_base_b
    .private_segment_fixed_size: 0
    .sgpr_count:     44
    .sgpr_spill_count: 0
    .symbol:         _ZN9rocsparseL19coomvn_atomic_loopsILj256ELj2Eld21rocsparse_complex_numIdES2_S2_EEvlNS_24const_host_device_scalarIT5_EEPKT1_S8_PKT2_PKT3_PT4_21rocsparse_index_base_b.kd
    .uniform_work_group_size: 1
    .uses_dynamic_stack: false
    .vgpr_count:     29
    .vgpr_spill_count: 0
    .wavefront_size: 64
  - .args:
      - .offset:         0
        .size:           8
        .value_kind:     by_value
      - .offset:         8
        .size:           4
        .value_kind:     by_value
      - .offset:         16
        .size:           8
        .value_kind:     by_value
      - .actual_access:  read_only
        .address_space:  global
        .offset:         24
        .size:           8
        .value_kind:     global_buffer
      - .actual_access:  read_only
        .address_space:  global
        .offset:         32
        .size:           8
        .value_kind:     global_buffer
      - .actual_access:  read_only
        .address_space:  global
        .offset:         40
        .size:           8
        .value_kind:     global_buffer
      - .actual_access:  read_only
        .address_space:  global
        .offset:         48
        .size:           8
        .value_kind:     global_buffer
      - .address_space:  global
        .offset:         56
        .size:           8
        .value_kind:     global_buffer
      - .actual_access:  write_only
        .address_space:  global
        .offset:         64
        .size:           8
        .value_kind:     global_buffer
      - .actual_access:  write_only
        .address_space:  global
        .offset:         72
        .size:           8
        .value_kind:     global_buffer
      - .offset:         80
        .size:           4
        .value_kind:     by_value
      - .offset:         84
        .size:           1
        .value_kind:     by_value
    .group_segment_fixed_size: 3072
    .kernarg_segment_align: 8
    .kernarg_segment_size: 88
    .language:       OpenCL C
    .language_version:
      - 2
      - 0
    .max_flat_workgroup_size: 256
    .name:           _ZN9rocsparseL22coomvn_segmented_loopsILj256EifdddEEvlT0_NS_24const_host_device_scalarIT4_EEPKS1_S6_PKT1_PKT2_PT3_PS1_PS3_21rocsparse_index_base_b
    .private_segment_fixed_size: 0
    .sgpr_count:     48
    .sgpr_spill_count: 0
    .symbol:         _ZN9rocsparseL22coomvn_segmented_loopsILj256EifdddEEvlT0_NS_24const_host_device_scalarIT4_EEPKS1_S6_PKT1_PKT2_PT3_PS1_PS3_21rocsparse_index_base_b.kd
    .uniform_work_group_size: 1
    .uses_dynamic_stack: false
    .vgpr_count:     34
    .vgpr_spill_count: 0
    .wavefront_size: 64
  - .args:
      - .offset:         0
        .size:           4
        .value_kind:     by_value
      - .offset:         8
        .size:           8
        .value_kind:     by_value
      - .offset:         16
        .size:           8
        .value_kind:     by_value
      - .actual_access:  read_only
        .address_space:  global
        .offset:         24
        .size:           8
        .value_kind:     global_buffer
      - .actual_access:  read_only
        .address_space:  global
        .offset:         32
        .size:           8
        .value_kind:     global_buffer
      - .actual_access:  read_only
        .address_space:  global
        .offset:         40
        .size:           8
        .value_kind:     global_buffer
      - .actual_access:  read_only
        .address_space:  global
        .offset:         48
        .size:           8
        .value_kind:     global_buffer
      - .address_space:  global
        .offset:         56
        .size:           8
        .value_kind:     global_buffer
      - .offset:         64
        .size:           4
        .value_kind:     by_value
      - .offset:         68
        .size:           1
        .value_kind:     by_value
      - .offset:         72
        .size:           4
        .value_kind:     hidden_block_count_x
      - .offset:         76
        .size:           4
        .value_kind:     hidden_block_count_y
      - .offset:         80
        .size:           4
        .value_kind:     hidden_block_count_z
      - .offset:         84
        .size:           2
        .value_kind:     hidden_group_size_x
      - .offset:         86
        .size:           2
        .value_kind:     hidden_group_size_y
      - .offset:         88
        .size:           2
        .value_kind:     hidden_group_size_z
      - .offset:         90
        .size:           2
        .value_kind:     hidden_remainder_x
      - .offset:         92
        .size:           2
        .value_kind:     hidden_remainder_y
      - .offset:         94
        .size:           2
        .value_kind:     hidden_remainder_z
      - .offset:         112
        .size:           8
        .value_kind:     hidden_global_offset_x
      - .offset:         120
        .size:           8
        .value_kind:     hidden_global_offset_y
      - .offset:         128
        .size:           8
        .value_kind:     hidden_global_offset_z
      - .offset:         136
        .size:           2
        .value_kind:     hidden_grid_dims
    .group_segment_fixed_size: 0
    .kernarg_segment_align: 8
    .kernarg_segment_size: 328
    .language:       OpenCL C
    .language_version:
      - 2
      - 0
    .max_flat_workgroup_size: 1024
    .name:           _ZN9rocsparseL13coomvt_kernelILj1024EifdddEEv20rocsparse_operation_lNS_24const_host_device_scalarIT4_EEPKT0_S7_PKT1_PKT2_PT3_21rocsparse_index_base_b
    .private_segment_fixed_size: 0
    .sgpr_count:     22
    .sgpr_spill_count: 0
    .symbol:         _ZN9rocsparseL13coomvt_kernelILj1024EifdddEEv20rocsparse_operation_lNS_24const_host_device_scalarIT4_EEPKT0_S7_PKT1_PKT2_PT3_21rocsparse_index_base_b.kd
    .uniform_work_group_size: 1
    .uses_dynamic_stack: false
    .vgpr_count:     10
    .vgpr_spill_count: 0
    .wavefront_size: 64
  - .args:
      - .offset:         0
        .size:           8
        .value_kind:     by_value
      - .offset:         8
        .size:           8
        .value_kind:     by_value
      - .actual_access:  read_only
        .address_space:  global
        .offset:         16
        .size:           8
        .value_kind:     global_buffer
      - .actual_access:  read_only
        .address_space:  global
        .offset:         24
        .size:           8
        .value_kind:     global_buffer
      - .actual_access:  read_only
        .address_space:  global
        .offset:         32
        .size:           8
        .value_kind:     global_buffer
      - .actual_access:  read_only
        .address_space:  global
        .offset:         40
        .size:           8
        .value_kind:     global_buffer
      - .address_space:  global
        .offset:         48
        .size:           8
        .value_kind:     global_buffer
      - .offset:         56
        .size:           4
        .value_kind:     by_value
      - .offset:         60
        .size:           1
        .value_kind:     by_value
    .group_segment_fixed_size: 3072
    .kernarg_segment_align: 8
    .kernarg_segment_size: 64
    .language:       OpenCL C
    .language_version:
      - 2
      - 0
    .max_flat_workgroup_size: 256
    .name:           _ZN9rocsparseL19coomvn_atomic_loopsILj256ELj1EifdddEEvlNS_24const_host_device_scalarIT5_EEPKT1_S6_PKT2_PKT3_PT4_21rocsparse_index_base_b
    .private_segment_fixed_size: 0
    .sgpr_count:     22
    .sgpr_spill_count: 0
    .symbol:         _ZN9rocsparseL19coomvn_atomic_loopsILj256ELj1EifdddEEvlNS_24const_host_device_scalarIT5_EEPKT1_S6_PKT2_PKT3_PT4_21rocsparse_index_base_b.kd
    .uniform_work_group_size: 1
    .uses_dynamic_stack: false
    .vgpr_count:     14
    .vgpr_spill_count: 0
    .wavefront_size: 64
  - .args:
      - .offset:         0
        .size:           8
        .value_kind:     by_value
      - .offset:         8
        .size:           8
        .value_kind:     by_value
      - .actual_access:  read_only
        .address_space:  global
        .offset:         16
        .size:           8
        .value_kind:     global_buffer
      - .actual_access:  read_only
        .address_space:  global
        .offset:         24
        .size:           8
        .value_kind:     global_buffer
      - .actual_access:  read_only
        .address_space:  global
        .offset:         32
        .size:           8
        .value_kind:     global_buffer
      - .actual_access:  read_only
        .address_space:  global
        .offset:         40
        .size:           8
        .value_kind:     global_buffer
      - .address_space:  global
        .offset:         48
        .size:           8
        .value_kind:     global_buffer
      - .offset:         56
        .size:           4
        .value_kind:     by_value
      - .offset:         60
        .size:           1
        .value_kind:     by_value
    .group_segment_fixed_size: 3072
    .kernarg_segment_align: 8
    .kernarg_segment_size: 64
    .language:       OpenCL C
    .language_version:
      - 2
      - 0
    .max_flat_workgroup_size: 256
    .name:           _ZN9rocsparseL19coomvn_atomic_loopsILj256ELj2EifdddEEvlNS_24const_host_device_scalarIT5_EEPKT1_S6_PKT2_PKT3_PT4_21rocsparse_index_base_b
    .private_segment_fixed_size: 0
    .sgpr_count:     44
    .sgpr_spill_count: 0
    .symbol:         _ZN9rocsparseL19coomvn_atomic_loopsILj256ELj2EifdddEEvlNS_24const_host_device_scalarIT5_EEPKT1_S6_PKT2_PKT3_PT4_21rocsparse_index_base_b.kd
    .uniform_work_group_size: 1
    .uses_dynamic_stack: false
    .vgpr_count:     21
    .vgpr_spill_count: 0
    .wavefront_size: 64
  - .args:
      - .offset:         0
        .size:           8
        .value_kind:     by_value
      - .offset:         8
        .size:           8
        .value_kind:     by_value
      - .offset:         16
        .size:           8
        .value_kind:     by_value
      - .actual_access:  read_only
        .address_space:  global
        .offset:         24
        .size:           8
        .value_kind:     global_buffer
      - .actual_access:  read_only
        .address_space:  global
        .offset:         32
        .size:           8
        .value_kind:     global_buffer
      - .actual_access:  read_only
        .address_space:  global
        .offset:         40
        .size:           8
        .value_kind:     global_buffer
      - .actual_access:  read_only
        .address_space:  global
        .offset:         48
        .size:           8
        .value_kind:     global_buffer
      - .address_space:  global
        .offset:         56
        .size:           8
        .value_kind:     global_buffer
      - .actual_access:  write_only
        .address_space:  global
        .offset:         64
        .size:           8
        .value_kind:     global_buffer
      - .actual_access:  write_only
        .address_space:  global
        .offset:         72
        .size:           8
        .value_kind:     global_buffer
      - .offset:         80
        .size:           4
        .value_kind:     by_value
      - .offset:         84
        .size:           1
        .value_kind:     by_value
    .group_segment_fixed_size: 4096
    .kernarg_segment_align: 8
    .kernarg_segment_size: 88
    .language:       OpenCL C
    .language_version:
      - 2
      - 0
    .max_flat_workgroup_size: 256
    .name:           _ZN9rocsparseL22coomvn_segmented_loopsILj256ElfdddEEvlT0_NS_24const_host_device_scalarIT4_EEPKS1_S6_PKT1_PKT2_PT3_PS1_PS3_21rocsparse_index_base_b
    .private_segment_fixed_size: 0
    .sgpr_count:     52
    .sgpr_spill_count: 0
    .symbol:         _ZN9rocsparseL22coomvn_segmented_loopsILj256ElfdddEEvlT0_NS_24const_host_device_scalarIT4_EEPKS1_S6_PKT1_PKT2_PT3_PS1_PS3_21rocsparse_index_base_b.kd
    .uniform_work_group_size: 1
    .uses_dynamic_stack: false
    .vgpr_count:     38
    .vgpr_spill_count: 0
    .wavefront_size: 64
  - .args:
      - .offset:         0
        .size:           4
        .value_kind:     by_value
      - .offset:         8
        .size:           8
        .value_kind:     by_value
      - .offset:         16
        .size:           8
        .value_kind:     by_value
      - .actual_access:  read_only
        .address_space:  global
        .offset:         24
        .size:           8
        .value_kind:     global_buffer
      - .actual_access:  read_only
        .address_space:  global
        .offset:         32
        .size:           8
        .value_kind:     global_buffer
      - .actual_access:  read_only
        .address_space:  global
        .offset:         40
        .size:           8
        .value_kind:     global_buffer
      - .actual_access:  read_only
        .address_space:  global
        .offset:         48
        .size:           8
        .value_kind:     global_buffer
      - .address_space:  global
        .offset:         56
        .size:           8
        .value_kind:     global_buffer
      - .offset:         64
        .size:           4
        .value_kind:     by_value
      - .offset:         68
        .size:           1
        .value_kind:     by_value
      - .offset:         72
        .size:           4
        .value_kind:     hidden_block_count_x
      - .offset:         76
        .size:           4
        .value_kind:     hidden_block_count_y
      - .offset:         80
        .size:           4
        .value_kind:     hidden_block_count_z
      - .offset:         84
        .size:           2
        .value_kind:     hidden_group_size_x
      - .offset:         86
        .size:           2
        .value_kind:     hidden_group_size_y
      - .offset:         88
        .size:           2
        .value_kind:     hidden_group_size_z
      - .offset:         90
        .size:           2
        .value_kind:     hidden_remainder_x
      - .offset:         92
        .size:           2
        .value_kind:     hidden_remainder_y
      - .offset:         94
        .size:           2
        .value_kind:     hidden_remainder_z
      - .offset:         112
        .size:           8
        .value_kind:     hidden_global_offset_x
      - .offset:         120
        .size:           8
        .value_kind:     hidden_global_offset_y
      - .offset:         128
        .size:           8
        .value_kind:     hidden_global_offset_z
      - .offset:         136
        .size:           2
        .value_kind:     hidden_grid_dims
    .group_segment_fixed_size: 0
    .kernarg_segment_align: 8
    .kernarg_segment_size: 328
    .language:       OpenCL C
    .language_version:
      - 2
      - 0
    .max_flat_workgroup_size: 1024
    .name:           _ZN9rocsparseL13coomvt_kernelILj1024ElfdddEEv20rocsparse_operation_lNS_24const_host_device_scalarIT4_EEPKT0_S7_PKT1_PKT2_PT3_21rocsparse_index_base_b
    .private_segment_fixed_size: 0
    .sgpr_count:     22
    .sgpr_spill_count: 0
    .symbol:         _ZN9rocsparseL13coomvt_kernelILj1024ElfdddEEv20rocsparse_operation_lNS_24const_host_device_scalarIT4_EEPKT0_S7_PKT1_PKT2_PT3_21rocsparse_index_base_b.kd
    .uniform_work_group_size: 1
    .uses_dynamic_stack: false
    .vgpr_count:     10
    .vgpr_spill_count: 0
    .wavefront_size: 64
  - .args:
      - .offset:         0
        .size:           8
        .value_kind:     by_value
      - .offset:         8
        .size:           8
        .value_kind:     by_value
      - .actual_access:  read_only
        .address_space:  global
        .offset:         16
        .size:           8
        .value_kind:     global_buffer
      - .actual_access:  read_only
        .address_space:  global
        .offset:         24
        .size:           8
        .value_kind:     global_buffer
      - .actual_access:  read_only
        .address_space:  global
        .offset:         32
        .size:           8
        .value_kind:     global_buffer
      - .actual_access:  read_only
        .address_space:  global
        .offset:         40
        .size:           8
        .value_kind:     global_buffer
      - .address_space:  global
        .offset:         48
        .size:           8
        .value_kind:     global_buffer
      - .offset:         56
        .size:           4
        .value_kind:     by_value
      - .offset:         60
        .size:           1
        .value_kind:     by_value
    .group_segment_fixed_size: 4096
    .kernarg_segment_align: 8
    .kernarg_segment_size: 64
    .language:       OpenCL C
    .language_version:
      - 2
      - 0
    .max_flat_workgroup_size: 256
    .name:           _ZN9rocsparseL19coomvn_atomic_loopsILj256ELj1ElfdddEEvlNS_24const_host_device_scalarIT5_EEPKT1_S6_PKT2_PKT3_PT4_21rocsparse_index_base_b
    .private_segment_fixed_size: 0
    .sgpr_count:     22
    .sgpr_spill_count: 0
    .symbol:         _ZN9rocsparseL19coomvn_atomic_loopsILj256ELj1ElfdddEEvlNS_24const_host_device_scalarIT5_EEPKT1_S6_PKT2_PKT3_PT4_21rocsparse_index_base_b.kd
    .uniform_work_group_size: 1
    .uses_dynamic_stack: false
    .vgpr_count:     15
    .vgpr_spill_count: 0
    .wavefront_size: 64
  - .args:
      - .offset:         0
        .size:           8
        .value_kind:     by_value
      - .offset:         8
        .size:           8
        .value_kind:     by_value
      - .actual_access:  read_only
        .address_space:  global
        .offset:         16
        .size:           8
        .value_kind:     global_buffer
      - .actual_access:  read_only
        .address_space:  global
        .offset:         24
        .size:           8
        .value_kind:     global_buffer
      - .actual_access:  read_only
        .address_space:  global
        .offset:         32
        .size:           8
        .value_kind:     global_buffer
      - .actual_access:  read_only
        .address_space:  global
        .offset:         40
        .size:           8
        .value_kind:     global_buffer
      - .address_space:  global
        .offset:         48
        .size:           8
        .value_kind:     global_buffer
      - .offset:         56
        .size:           4
        .value_kind:     by_value
      - .offset:         60
        .size:           1
        .value_kind:     by_value
    .group_segment_fixed_size: 4096
    .kernarg_segment_align: 8
    .kernarg_segment_size: 64
    .language:       OpenCL C
    .language_version:
      - 2
      - 0
    .max_flat_workgroup_size: 256
    .name:           _ZN9rocsparseL19coomvn_atomic_loopsILj256ELj2ElfdddEEvlNS_24const_host_device_scalarIT5_EEPKT1_S6_PKT2_PKT3_PT4_21rocsparse_index_base_b
    .private_segment_fixed_size: 0
    .sgpr_count:     44
    .sgpr_spill_count: 0
    .symbol:         _ZN9rocsparseL19coomvn_atomic_loopsILj256ELj2ElfdddEEvlNS_24const_host_device_scalarIT5_EEPKT1_S6_PKT2_PKT3_PT4_21rocsparse_index_base_b.kd
    .uniform_work_group_size: 1
    .uses_dynamic_stack: false
    .vgpr_count:     23
    .vgpr_spill_count: 0
    .wavefront_size: 64
  - .args:
      - .offset:         0
        .size:           8
        .value_kind:     by_value
      - .offset:         8
        .size:           4
        .value_kind:     by_value
      - .offset:         16
        .size:           16
        .value_kind:     by_value
      - .actual_access:  read_only
        .address_space:  global
        .offset:         32
        .size:           8
        .value_kind:     global_buffer
      - .actual_access:  read_only
        .address_space:  global
        .offset:         40
        .size:           8
        .value_kind:     global_buffer
      - .actual_access:  read_only
        .address_space:  global
        .offset:         48
        .size:           8
        .value_kind:     global_buffer
      - .actual_access:  read_only
        .address_space:  global
        .offset:         56
        .size:           8
        .value_kind:     global_buffer
      - .address_space:  global
        .offset:         64
        .size:           8
        .value_kind:     global_buffer
      - .actual_access:  write_only
        .address_space:  global
        .offset:         72
        .size:           8
        .value_kind:     global_buffer
      - .actual_access:  write_only
        .address_space:  global
        .offset:         80
        .size:           8
        .value_kind:     global_buffer
      - .offset:         88
        .size:           4
        .value_kind:     by_value
      - .offset:         92
        .size:           1
        .value_kind:     by_value
    .group_segment_fixed_size: 5120
    .kernarg_segment_align: 8
    .kernarg_segment_size: 96
    .language:       OpenCL C
    .language_version:
      - 2
      - 0
    .max_flat_workgroup_size: 256
    .name:           _ZN9rocsparseL22coomvn_segmented_loopsILj256Ei21rocsparse_complex_numIfES1_IdES3_S3_EEvlT0_NS_24const_host_device_scalarIT4_EEPKS4_S9_PKT1_PKT2_PT3_PS4_PS6_21rocsparse_index_base_b
    .private_segment_fixed_size: 0
    .sgpr_count:     48
    .sgpr_spill_count: 0
    .symbol:         _ZN9rocsparseL22coomvn_segmented_loopsILj256Ei21rocsparse_complex_numIfES1_IdES3_S3_EEvlT0_NS_24const_host_device_scalarIT4_EEPKS4_S9_PKT1_PKT2_PT3_PS4_PS6_21rocsparse_index_base_b.kd
    .uniform_work_group_size: 1
    .uses_dynamic_stack: false
    .vgpr_count:     38
    .vgpr_spill_count: 0
    .wavefront_size: 64
  - .args:
      - .offset:         0
        .size:           4
        .value_kind:     by_value
      - .offset:         8
        .size:           8
        .value_kind:     by_value
      - .offset:         16
        .size:           16
        .value_kind:     by_value
      - .actual_access:  read_only
        .address_space:  global
        .offset:         32
        .size:           8
        .value_kind:     global_buffer
      - .actual_access:  read_only
        .address_space:  global
        .offset:         40
        .size:           8
        .value_kind:     global_buffer
      - .actual_access:  read_only
        .address_space:  global
        .offset:         48
        .size:           8
        .value_kind:     global_buffer
      - .actual_access:  read_only
        .address_space:  global
        .offset:         56
        .size:           8
        .value_kind:     global_buffer
      - .address_space:  global
        .offset:         64
        .size:           8
        .value_kind:     global_buffer
      - .offset:         72
        .size:           4
        .value_kind:     by_value
      - .offset:         76
        .size:           1
        .value_kind:     by_value
      - .offset:         80
        .size:           4
        .value_kind:     hidden_block_count_x
      - .offset:         84
        .size:           4
        .value_kind:     hidden_block_count_y
      - .offset:         88
        .size:           4
        .value_kind:     hidden_block_count_z
      - .offset:         92
        .size:           2
        .value_kind:     hidden_group_size_x
      - .offset:         94
        .size:           2
        .value_kind:     hidden_group_size_y
      - .offset:         96
        .size:           2
        .value_kind:     hidden_group_size_z
      - .offset:         98
        .size:           2
        .value_kind:     hidden_remainder_x
      - .offset:         100
        .size:           2
        .value_kind:     hidden_remainder_y
      - .offset:         102
        .size:           2
        .value_kind:     hidden_remainder_z
      - .offset:         120
        .size:           8
        .value_kind:     hidden_global_offset_x
      - .offset:         128
        .size:           8
        .value_kind:     hidden_global_offset_y
      - .offset:         136
        .size:           8
        .value_kind:     hidden_global_offset_z
      - .offset:         144
        .size:           2
        .value_kind:     hidden_grid_dims
    .group_segment_fixed_size: 0
    .kernarg_segment_align: 8
    .kernarg_segment_size: 336
    .language:       OpenCL C
    .language_version:
      - 2
      - 0
    .max_flat_workgroup_size: 1024
    .name:           _ZN9rocsparseL13coomvt_kernelILj1024Ei21rocsparse_complex_numIfES1_IdES3_S3_EEv20rocsparse_operation_lNS_24const_host_device_scalarIT4_EEPKT0_SA_PKT1_PKT2_PT3_21rocsparse_index_base_b
    .private_segment_fixed_size: 0
    .sgpr_count:     20
    .sgpr_spill_count: 0
    .symbol:         _ZN9rocsparseL13coomvt_kernelILj1024Ei21rocsparse_complex_numIfES1_IdES3_S3_EEv20rocsparse_operation_lNS_24const_host_device_scalarIT4_EEPKT0_SA_PKT1_PKT2_PT3_21rocsparse_index_base_b.kd
    .uniform_work_group_size: 1
    .uses_dynamic_stack: false
    .vgpr_count:     21
    .vgpr_spill_count: 0
    .wavefront_size: 64
  - .args:
      - .offset:         0
        .size:           8
        .value_kind:     by_value
      - .offset:         8
        .size:           16
        .value_kind:     by_value
      - .actual_access:  read_only
        .address_space:  global
        .offset:         24
        .size:           8
        .value_kind:     global_buffer
      - .actual_access:  read_only
        .address_space:  global
        .offset:         32
        .size:           8
        .value_kind:     global_buffer
      - .actual_access:  read_only
        .address_space:  global
        .offset:         40
        .size:           8
        .value_kind:     global_buffer
      - .actual_access:  read_only
        .address_space:  global
        .offset:         48
        .size:           8
        .value_kind:     global_buffer
      - .address_space:  global
        .offset:         56
        .size:           8
        .value_kind:     global_buffer
      - .offset:         64
        .size:           4
        .value_kind:     by_value
      - .offset:         68
        .size:           1
        .value_kind:     by_value
    .group_segment_fixed_size: 5120
    .kernarg_segment_align: 8
    .kernarg_segment_size: 72
    .language:       OpenCL C
    .language_version:
      - 2
      - 0
    .max_flat_workgroup_size: 256
    .name:           _ZN9rocsparseL19coomvn_atomic_loopsILj256ELj1Ei21rocsparse_complex_numIfES1_IdES3_S3_EEvlNS_24const_host_device_scalarIT5_EEPKT1_S9_PKT2_PKT3_PT4_21rocsparse_index_base_b
    .private_segment_fixed_size: 0
    .sgpr_count:     20
    .sgpr_spill_count: 0
    .symbol:         _ZN9rocsparseL19coomvn_atomic_loopsILj256ELj1Ei21rocsparse_complex_numIfES1_IdES3_S3_EEvlNS_24const_host_device_scalarIT5_EEPKT1_S9_PKT2_PKT3_PT4_21rocsparse_index_base_b.kd
    .uniform_work_group_size: 1
    .uses_dynamic_stack: false
    .vgpr_count:     18
    .vgpr_spill_count: 0
    .wavefront_size: 64
  - .args:
      - .offset:         0
        .size:           8
        .value_kind:     by_value
      - .offset:         8
        .size:           16
        .value_kind:     by_value
      - .actual_access:  read_only
        .address_space:  global
        .offset:         24
        .size:           8
        .value_kind:     global_buffer
      - .actual_access:  read_only
        .address_space:  global
        .offset:         32
        .size:           8
        .value_kind:     global_buffer
      - .actual_access:  read_only
        .address_space:  global
        .offset:         40
        .size:           8
        .value_kind:     global_buffer
      - .actual_access:  read_only
        .address_space:  global
        .offset:         48
        .size:           8
        .value_kind:     global_buffer
      - .address_space:  global
        .offset:         56
        .size:           8
        .value_kind:     global_buffer
      - .offset:         64
        .size:           4
        .value_kind:     by_value
      - .offset:         68
        .size:           1
        .value_kind:     by_value
    .group_segment_fixed_size: 5120
    .kernarg_segment_align: 8
    .kernarg_segment_size: 72
    .language:       OpenCL C
    .language_version:
      - 2
      - 0
    .max_flat_workgroup_size: 256
    .name:           _ZN9rocsparseL19coomvn_atomic_loopsILj256ELj2Ei21rocsparse_complex_numIfES1_IdES3_S3_EEvlNS_24const_host_device_scalarIT5_EEPKT1_S9_PKT2_PKT3_PT4_21rocsparse_index_base_b
    .private_segment_fixed_size: 0
    .sgpr_count:     44
    .sgpr_spill_count: 0
    .symbol:         _ZN9rocsparseL19coomvn_atomic_loopsILj256ELj2Ei21rocsparse_complex_numIfES1_IdES3_S3_EEvlNS_24const_host_device_scalarIT5_EEPKT1_S9_PKT2_PKT3_PT4_21rocsparse_index_base_b.kd
    .uniform_work_group_size: 1
    .uses_dynamic_stack: false
    .vgpr_count:     29
    .vgpr_spill_count: 0
    .wavefront_size: 64
  - .args:
      - .offset:         0
        .size:           8
        .value_kind:     by_value
      - .offset:         8
        .size:           8
        .value_kind:     by_value
      - .offset:         16
        .size:           16
        .value_kind:     by_value
      - .actual_access:  read_only
        .address_space:  global
        .offset:         32
        .size:           8
        .value_kind:     global_buffer
      - .actual_access:  read_only
        .address_space:  global
        .offset:         40
        .size:           8
        .value_kind:     global_buffer
      - .actual_access:  read_only
        .address_space:  global
        .offset:         48
        .size:           8
        .value_kind:     global_buffer
      - .actual_access:  read_only
        .address_space:  global
        .offset:         56
        .size:           8
        .value_kind:     global_buffer
      - .address_space:  global
        .offset:         64
        .size:           8
        .value_kind:     global_buffer
      - .actual_access:  write_only
        .address_space:  global
        .offset:         72
        .size:           8
        .value_kind:     global_buffer
      - .actual_access:  write_only
        .address_space:  global
        .offset:         80
        .size:           8
        .value_kind:     global_buffer
      - .offset:         88
        .size:           4
        .value_kind:     by_value
      - .offset:         92
        .size:           1
        .value_kind:     by_value
    .group_segment_fixed_size: 6144
    .kernarg_segment_align: 8
    .kernarg_segment_size: 96
    .language:       OpenCL C
    .language_version:
      - 2
      - 0
    .max_flat_workgroup_size: 256
    .name:           _ZN9rocsparseL22coomvn_segmented_loopsILj256El21rocsparse_complex_numIfES1_IdES3_S3_EEvlT0_NS_24const_host_device_scalarIT4_EEPKS4_S9_PKT1_PKT2_PT3_PS4_PS6_21rocsparse_index_base_b
    .private_segment_fixed_size: 0
    .sgpr_count:     52
    .sgpr_spill_count: 0
    .symbol:         _ZN9rocsparseL22coomvn_segmented_loopsILj256El21rocsparse_complex_numIfES1_IdES3_S3_EEvlT0_NS_24const_host_device_scalarIT4_EEPKS4_S9_PKT1_PKT2_PT3_PS4_PS6_21rocsparse_index_base_b.kd
    .uniform_work_group_size: 1
    .uses_dynamic_stack: false
    .vgpr_count:     46
    .vgpr_spill_count: 0
    .wavefront_size: 64
  - .args:
      - .offset:         0
        .size:           4
        .value_kind:     by_value
      - .offset:         8
        .size:           8
        .value_kind:     by_value
      - .offset:         16
        .size:           16
        .value_kind:     by_value
      - .actual_access:  read_only
        .address_space:  global
        .offset:         32
        .size:           8
        .value_kind:     global_buffer
      - .actual_access:  read_only
        .address_space:  global
        .offset:         40
        .size:           8
        .value_kind:     global_buffer
      - .actual_access:  read_only
        .address_space:  global
        .offset:         48
        .size:           8
        .value_kind:     global_buffer
      - .actual_access:  read_only
        .address_space:  global
        .offset:         56
        .size:           8
        .value_kind:     global_buffer
      - .address_space:  global
        .offset:         64
        .size:           8
        .value_kind:     global_buffer
      - .offset:         72
        .size:           4
        .value_kind:     by_value
      - .offset:         76
        .size:           1
        .value_kind:     by_value
      - .offset:         80
        .size:           4
        .value_kind:     hidden_block_count_x
      - .offset:         84
        .size:           4
        .value_kind:     hidden_block_count_y
      - .offset:         88
        .size:           4
        .value_kind:     hidden_block_count_z
      - .offset:         92
        .size:           2
        .value_kind:     hidden_group_size_x
      - .offset:         94
        .size:           2
        .value_kind:     hidden_group_size_y
      - .offset:         96
        .size:           2
        .value_kind:     hidden_group_size_z
      - .offset:         98
        .size:           2
        .value_kind:     hidden_remainder_x
      - .offset:         100
        .size:           2
        .value_kind:     hidden_remainder_y
      - .offset:         102
        .size:           2
        .value_kind:     hidden_remainder_z
      - .offset:         120
        .size:           8
        .value_kind:     hidden_global_offset_x
      - .offset:         128
        .size:           8
        .value_kind:     hidden_global_offset_y
      - .offset:         136
        .size:           8
        .value_kind:     hidden_global_offset_z
      - .offset:         144
        .size:           2
        .value_kind:     hidden_grid_dims
    .group_segment_fixed_size: 0
    .kernarg_segment_align: 8
    .kernarg_segment_size: 336
    .language:       OpenCL C
    .language_version:
      - 2
      - 0
    .max_flat_workgroup_size: 1024
    .name:           _ZN9rocsparseL13coomvt_kernelILj1024El21rocsparse_complex_numIfES1_IdES3_S3_EEv20rocsparse_operation_lNS_24const_host_device_scalarIT4_EEPKT0_SA_PKT1_PKT2_PT3_21rocsparse_index_base_b
    .private_segment_fixed_size: 0
    .sgpr_count:     20
    .sgpr_spill_count: 0
    .symbol:         _ZN9rocsparseL13coomvt_kernelILj1024El21rocsparse_complex_numIfES1_IdES3_S3_EEv20rocsparse_operation_lNS_24const_host_device_scalarIT4_EEPKT0_SA_PKT1_PKT2_PT3_21rocsparse_index_base_b.kd
    .uniform_work_group_size: 1
    .uses_dynamic_stack: false
    .vgpr_count:     20
    .vgpr_spill_count: 0
    .wavefront_size: 64
  - .args:
      - .offset:         0
        .size:           8
        .value_kind:     by_value
      - .offset:         8
        .size:           16
        .value_kind:     by_value
      - .actual_access:  read_only
        .address_space:  global
        .offset:         24
        .size:           8
        .value_kind:     global_buffer
      - .actual_access:  read_only
        .address_space:  global
        .offset:         32
        .size:           8
        .value_kind:     global_buffer
      - .actual_access:  read_only
        .address_space:  global
        .offset:         40
        .size:           8
        .value_kind:     global_buffer
      - .actual_access:  read_only
        .address_space:  global
        .offset:         48
        .size:           8
        .value_kind:     global_buffer
      - .address_space:  global
        .offset:         56
        .size:           8
        .value_kind:     global_buffer
      - .offset:         64
        .size:           4
        .value_kind:     by_value
      - .offset:         68
        .size:           1
        .value_kind:     by_value
    .group_segment_fixed_size: 6144
    .kernarg_segment_align: 8
    .kernarg_segment_size: 72
    .language:       OpenCL C
    .language_version:
      - 2
      - 0
    .max_flat_workgroup_size: 256
    .name:           _ZN9rocsparseL19coomvn_atomic_loopsILj256ELj1El21rocsparse_complex_numIfES1_IdES3_S3_EEvlNS_24const_host_device_scalarIT5_EEPKT1_S9_PKT2_PKT3_PT4_21rocsparse_index_base_b
    .private_segment_fixed_size: 0
    .sgpr_count:     20
    .sgpr_spill_count: 0
    .symbol:         _ZN9rocsparseL19coomvn_atomic_loopsILj256ELj1El21rocsparse_complex_numIfES1_IdES3_S3_EEvlNS_24const_host_device_scalarIT5_EEPKT1_S9_PKT2_PKT3_PT4_21rocsparse_index_base_b.kd
    .uniform_work_group_size: 1
    .uses_dynamic_stack: false
    .vgpr_count:     19
    .vgpr_spill_count: 0
    .wavefront_size: 64
  - .args:
      - .offset:         0
        .size:           8
        .value_kind:     by_value
      - .offset:         8
        .size:           16
        .value_kind:     by_value
      - .actual_access:  read_only
        .address_space:  global
        .offset:         24
        .size:           8
        .value_kind:     global_buffer
      - .actual_access:  read_only
        .address_space:  global
        .offset:         32
        .size:           8
        .value_kind:     global_buffer
      - .actual_access:  read_only
        .address_space:  global
        .offset:         40
        .size:           8
        .value_kind:     global_buffer
      - .actual_access:  read_only
        .address_space:  global
        .offset:         48
        .size:           8
        .value_kind:     global_buffer
      - .address_space:  global
        .offset:         56
        .size:           8
        .value_kind:     global_buffer
      - .offset:         64
        .size:           4
        .value_kind:     by_value
      - .offset:         68
        .size:           1
        .value_kind:     by_value
    .group_segment_fixed_size: 6144
    .kernarg_segment_align: 8
    .kernarg_segment_size: 72
    .language:       OpenCL C
    .language_version:
      - 2
      - 0
    .max_flat_workgroup_size: 256
    .name:           _ZN9rocsparseL19coomvn_atomic_loopsILj256ELj2El21rocsparse_complex_numIfES1_IdES3_S3_EEvlNS_24const_host_device_scalarIT5_EEPKT1_S9_PKT2_PKT3_PT4_21rocsparse_index_base_b
    .private_segment_fixed_size: 0
    .sgpr_count:     44
    .sgpr_spill_count: 0
    .symbol:         _ZN9rocsparseL19coomvn_atomic_loopsILj256ELj2El21rocsparse_complex_numIfES1_IdES3_S3_EEvlNS_24const_host_device_scalarIT5_EEPKT1_S9_PKT2_PKT3_PT4_21rocsparse_index_base_b.kd
    .uniform_work_group_size: 1
    .uses_dynamic_stack: false
    .vgpr_count:     29
    .vgpr_spill_count: 0
    .wavefront_size: 64
amdhsa.target:   amdgcn-amd-amdhsa--gfx906
amdhsa.version:
  - 1
  - 2
...

	.end_amdgpu_metadata
